;; amdgpu-corpus repo=ROCm/rocFFT kind=compiled arch=gfx906 opt=O3
	.text
	.amdgcn_target "amdgcn-amd-amdhsa--gfx906"
	.amdhsa_code_object_version 6
	.protected	bluestein_single_back_len1815_dim1_sp_op_CI_CI ; -- Begin function bluestein_single_back_len1815_dim1_sp_op_CI_CI
	.globl	bluestein_single_back_len1815_dim1_sp_op_CI_CI
	.p2align	8
	.type	bluestein_single_back_len1815_dim1_sp_op_CI_CI,@function
bluestein_single_back_len1815_dim1_sp_op_CI_CI: ; @bluestein_single_back_len1815_dim1_sp_op_CI_CI
; %bb.0:
	s_load_dwordx4 s[0:3], s[4:5], 0x28
	v_mul_u32_u24_e32 v1, 0x18e, v0
	v_add_u32_sdwa v78, s6, v1 dst_sel:DWORD dst_unused:UNUSED_PAD src0_sel:DWORD src1_sel:WORD_1
	v_mov_b32_e32 v79, 0
	s_waitcnt lgkmcnt(0)
	v_cmp_gt_u64_e32 vcc, s[0:1], v[78:79]
	s_and_saveexec_b64 s[0:1], vcc
	s_cbranch_execz .LBB0_18
; %bb.1:
	s_load_dwordx4 s[16:19], s[4:5], 0x18
	s_load_dwordx4 s[12:15], s[4:5], 0x0
	s_movk_i32 s0, 0xa5
	v_mul_lo_u16_sdwa v1, v1, s0 dst_sel:DWORD dst_unused:UNUSED_PAD src0_sel:WORD_1 src1_sel:DWORD
	v_sub_u16_e32 v114, v0, v1
	s_waitcnt lgkmcnt(0)
	s_load_dwordx4 s[8:11], s[16:17], 0x0
	v_lshlrev_b32_e32 v113, 3, v114
	s_movk_i32 s6, 0x1000
	s_waitcnt lgkmcnt(0)
	v_mad_u64_u32 v[0:1], s[0:1], s10, v78, 0
	v_mad_u64_u32 v[2:3], s[0:1], s8, v114, 0
	;; [unrolled: 1-line block ×4, first 2 shown]
	v_mov_b32_e32 v1, v4
	v_lshlrev_b64 v[0:1], 3, v[0:1]
	v_mov_b32_e32 v6, s3
	v_mov_b32_e32 v3, v5
	v_add_co_u32_e32 v4, vcc, s2, v0
	v_addc_co_u32_e32 v5, vcc, v6, v1, vcc
	v_lshlrev_b64 v[0:1], 3, v[2:3]
	v_mov_b32_e32 v2, s13
	v_add_co_u32_e32 v0, vcc, v4, v0
	v_add_co_u32_e64 v70, s[2:3], s12, v113
	s_mul_i32 s0, s9, 0x528
	s_mul_hi_u32 s1, s8, 0x528
	v_addc_co_u32_e32 v1, vcc, v5, v1, vcc
	v_addc_co_u32_e64 v24, vcc, 0, v2, s[2:3]
	s_add_i32 s0, s1, s0
	s_mul_i32 s1, s8, 0x528
	v_mov_b32_e32 v3, s0
	v_add_co_u32_e32 v2, vcc, s1, v0
	v_addc_co_u32_e32 v3, vcc, v1, v3, vcc
	v_mov_b32_e32 v5, s0
	v_add_co_u32_e32 v4, vcc, s1, v2
	v_addc_co_u32_e32 v5, vcc, v3, v5, vcc
	;; [unrolled: 3-line block ×3, first 2 shown]
	global_load_dwordx2 v[8:9], v[0:1], off
	global_load_dwordx2 v[10:11], v[2:3], off
	;; [unrolled: 1-line block ×4, first 2 shown]
	global_load_dwordx2 v[93:94], v113, s[12:13]
	global_load_dwordx2 v[91:92], v113, s[12:13] offset:1320
	global_load_dwordx2 v[87:88], v113, s[12:13] offset:2640
	;; [unrolled: 1-line block ×3, first 2 shown]
	v_mov_b32_e32 v1, s0
	v_add_co_u32_e32 v0, vcc, s1, v6
	v_addc_co_u32_e32 v1, vcc, v7, v1, vcc
	v_add_co_u32_e32 v4, vcc, s6, v70
	v_addc_co_u32_e32 v5, vcc, 0, v24, vcc
	global_load_dwordx2 v[2:3], v[0:1], off
	v_mov_b32_e32 v6, s0
	v_add_co_u32_e32 v0, vcc, s1, v0
	v_addc_co_u32_e32 v1, vcc, v1, v6, vcc
	global_load_dwordx2 v[6:7], v[0:1], off
	v_mov_b32_e32 v16, s0
	v_add_co_u32_e32 v0, vcc, s1, v0
	v_addc_co_u32_e32 v1, vcc, v1, v16, vcc
	global_load_dwordx2 v[16:17], v[0:1], off
	global_load_dwordx2 v[89:90], v[4:5], off offset:1184
	global_load_dwordx2 v[85:86], v[4:5], off offset:2504
	;; [unrolled: 1-line block ×3, first 2 shown]
	v_mov_b32_e32 v4, s0
	v_add_co_u32_e32 v0, vcc, s1, v0
	v_addc_co_u32_e32 v1, vcc, v1, v4, vcc
	s_movk_i32 s6, 0x2000
	v_add_co_u32_e32 v18, vcc, s6, v70
	v_addc_co_u32_e32 v19, vcc, 0, v24, vcc
	global_load_dwordx2 v[4:5], v[0:1], off
	v_mov_b32_e32 v20, s0
	v_add_co_u32_e32 v0, vcc, s1, v0
	v_addc_co_u32_e32 v1, vcc, v1, v20, vcc
	global_load_dwordx2 v[20:21], v[0:1], off
	v_mov_b32_e32 v22, s0
	v_add_co_u32_e32 v0, vcc, s1, v0
	global_load_dwordx2 v[76:77], v[18:19], off offset:1048
	v_addc_co_u32_e32 v1, vcc, v1, v22, vcc
	global_load_dwordx2 v[22:23], v[0:1], off
	global_load_dwordx2 v[79:80], v[18:19], off offset:2368
	global_load_dwordx2 v[74:75], v[18:19], off offset:3688
	v_mov_b32_e32 v18, s0
	v_add_co_u32_e32 v0, vcc, s1, v0
	v_addc_co_u32_e32 v1, vcc, v1, v18, vcc
	s_movk_i32 s0, 0x3000
	v_add_co_u32_e32 v18, vcc, s0, v70
	v_addc_co_u32_e32 v19, vcc, 0, v24, vcc
	global_load_dwordx2 v[0:1], v[0:1], off
	s_mov_b32 s0, 0x3ed4b147
	global_load_dwordx2 v[72:73], v[18:19], off offset:912
	s_load_dwordx2 s[6:7], s[4:5], 0x38
	s_load_dwordx4 s[8:11], s[18:19], 0x0
	s_mov_b32 s4, 0x3f575c64
	s_mov_b32 s1, 0xbe11bafb
	;; [unrolled: 1-line block ×4, first 2 shown]
	s_waitcnt vmcnt(17)
	v_mul_f32_e32 v18, v9, v94
	v_fmac_f32_e32 v18, v8, v93
	v_mul_f32_e32 v8, v8, v94
	v_fma_f32 v19, v9, v93, -v8
	s_waitcnt vmcnt(16)
	v_mul_f32_e32 v8, v11, v92
	v_mul_f32_e32 v9, v10, v92
	v_fmac_f32_e32 v8, v10, v91
	v_fma_f32 v9, v11, v91, -v9
	ds_write2_b64 v113, v[18:19], v[8:9] offset1:165
	s_waitcnt vmcnt(15)
	v_mul_f32_e32 v8, v13, v88
	v_mul_f32_e32 v9, v12, v88
	s_waitcnt vmcnt(14)
	v_mul_f32_e32 v10, v15, v84
	v_mul_f32_e32 v11, v14, v84
	v_fmac_f32_e32 v8, v12, v87
	v_fma_f32 v9, v13, v87, -v9
	v_fmac_f32_e32 v10, v14, v83
	v_fma_f32 v11, v15, v83, -v11
	v_add_u32_e32 v12, 0x800, v113
	ds_write2_b64 v12, v[8:9], v[10:11] offset0:74 offset1:239
	v_add_u32_e32 v10, 0x1400, v113
	v_add_u32_e32 v13, 0x1e00, v113
	s_waitcnt vmcnt(10)
	v_mul_f32_e32 v8, v3, v90
	v_fmac_f32_e32 v8, v2, v89
	v_mul_f32_e32 v2, v2, v90
	v_fma_f32 v9, v3, v89, -v2
	s_waitcnt vmcnt(9)
	v_mul_f32_e32 v2, v7, v86
	v_mul_f32_e32 v3, v6, v86
	v_fmac_f32_e32 v2, v6, v85
	v_fma_f32 v3, v7, v85, -v3
	ds_write2_b64 v10, v[8:9], v[2:3] offset0:20 offset1:185
	s_waitcnt vmcnt(8)
	v_mul_f32_e32 v2, v17, v82
	v_mul_f32_e32 v3, v16, v82
	v_fmac_f32_e32 v2, v16, v81
	v_fma_f32 v3, v17, v81, -v3
	v_add_u32_e32 v16, 0x2800, v113
	s_waitcnt vmcnt(5)
	v_mul_f32_e32 v6, v5, v77
	v_fmac_f32_e32 v6, v4, v76
	v_mul_f32_e32 v4, v4, v77
	v_fma_f32 v7, v5, v76, -v4
	ds_write2_b64 v13, v[2:3], v[6:7] offset0:30 offset1:195
	s_waitcnt vmcnt(3)
	v_mul_f32_e32 v2, v21, v80
	v_mul_f32_e32 v3, v20, v80
	s_waitcnt vmcnt(2)
	v_mul_f32_e32 v4, v23, v75
	v_mul_f32_e32 v5, v22, v75
	v_fmac_f32_e32 v2, v20, v79
	v_fma_f32 v3, v21, v79, -v3
	v_fmac_f32_e32 v4, v22, v74
	v_fma_f32 v5, v23, v74, -v5
	ds_write2_b64 v16, v[2:3], v[4:5] offset0:40 offset1:205
	s_waitcnt vmcnt(0)
	v_mul_f32_e32 v2, v1, v73
	v_fmac_f32_e32 v2, v0, v72
	v_mul_f32_e32 v0, v0, v73
	v_fma_f32 v3, v1, v72, -v0
	ds_write_b64 v113, v[2:3] offset:13200
	s_waitcnt lgkmcnt(0)
	s_barrier
	ds_read2_b64 v[0:3], v113 offset1:165
	ds_read2_b64 v[4:7], v12 offset0:74 offset1:239
	ds_read2_b64 v[8:11], v10 offset0:20 offset1:185
	;; [unrolled: 1-line block ×4, first 2 shown]
	ds_read_b64 v[20:21], v113 offset:13200
	s_waitcnt lgkmcnt(5)
	v_add_f32_e32 v22, v0, v2
	v_add_f32_e32 v23, v1, v3
	s_waitcnt lgkmcnt(4)
	v_add_f32_e32 v22, v22, v4
	v_add_f32_e32 v23, v23, v5
	v_add_f32_e32 v22, v22, v6
	v_add_f32_e32 v23, v23, v7
	s_waitcnt lgkmcnt(3)
	v_add_f32_e32 v22, v22, v8
	v_add_f32_e32 v23, v23, v9
	;; [unrolled: 5-line block ×4, first 2 shown]
	v_add_f32_e32 v22, v22, v18
	s_waitcnt lgkmcnt(0)
	v_add_f32_e32 v24, v20, v2
	v_add_f32_e32 v25, v21, v3
	v_sub_f32_e32 v2, v2, v20
	v_sub_f32_e32 v3, v3, v21
	v_add_f32_e32 v23, v23, v19
	v_add_f32_e32 v22, v22, v20
	v_mul_f32_e32 v20, 0xbf0a6770, v3
	v_mul_f32_e32 v26, 0xbf0a6770, v2
	;; [unrolled: 1-line block ×10, first 2 shown]
	v_add_f32_e32 v23, v23, v21
	v_fma_f32 v21, v24, s4, -v20
	v_mov_b32_e32 v27, v26
	v_fmac_f32_e32 v20, 0x3f575c64, v24
	v_fma_f32 v29, v24, s0, -v28
	v_mov_b32_e32 v31, v30
	v_fmac_f32_e32 v28, 0x3ed4b147, v24
	;; [unrolled: 3-line block ×5, first 2 shown]
	v_add_f32_e32 v21, v0, v21
	v_fmac_f32_e32 v27, 0x3f575c64, v25
	v_add_f32_e32 v20, v0, v20
	v_fma_f32 v26, v25, s4, -v26
	v_add_f32_e32 v29, v0, v29
	v_fmac_f32_e32 v31, 0x3ed4b147, v25
	v_add_f32_e32 v28, v0, v28
	v_fma_f32 v30, v25, s0, -v30
	;; [unrolled: 4-line block ×5, first 2 shown]
	v_add_f32_e32 v3, v19, v5
	v_sub_f32_e32 v5, v5, v19
	v_add_f32_e32 v27, v1, v27
	v_add_f32_e32 v26, v1, v26
	;; [unrolled: 1-line block ×11, first 2 shown]
	v_sub_f32_e32 v4, v4, v18
	v_mul_f32_e32 v18, 0xbf68dda4, v5
	v_fma_f32 v19, v2, s0, -v18
	v_add_f32_e32 v19, v19, v21
	v_mul_f32_e32 v21, 0xbf68dda4, v4
	v_fmac_f32_e32 v18, 0x3ed4b147, v2
	v_mov_b32_e32 v24, v21
	v_add_f32_e32 v18, v18, v20
	v_fma_f32 v20, v3, s0, -v21
	v_mul_f32_e32 v21, 0xbf4178ce, v5
	v_fma_f32 v25, v2, s5, -v21
	v_fmac_f32_e32 v21, 0xbf27a4f4, v2
	v_fmac_f32_e32 v24, 0x3ed4b147, v3
	v_add_f32_e32 v20, v20, v26
	v_mul_f32_e32 v26, 0xbf4178ce, v4
	v_add_f32_e32 v21, v21, v28
	v_mul_f32_e32 v28, 0x3e903f40, v5
	v_add_f32_e32 v24, v24, v27
	v_add_f32_e32 v25, v25, v29
	v_mov_b32_e32 v27, v26
	v_fma_f32 v26, v3, s5, -v26
	v_fma_f32 v29, v2, s12, -v28
	v_fmac_f32_e32 v28, 0xbf75a155, v2
	v_fmac_f32_e32 v27, 0xbf27a4f4, v3
	v_add_f32_e32 v26, v26, v30
	v_mul_f32_e32 v30, 0x3e903f40, v4
	v_add_f32_e32 v28, v28, v32
	v_mul_f32_e32 v32, 0x3f7d64f0, v5
	v_add_f32_e32 v27, v27, v31
	v_add_f32_e32 v29, v29, v33
	v_mov_b32_e32 v31, v30
	v_fma_f32 v30, v3, s12, -v30
	v_fma_f32 v33, v2, s1, -v32
	v_fmac_f32_e32 v32, 0xbe11bafb, v2
	v_mul_f32_e32 v5, 0x3f0a6770, v5
	v_add_f32_e32 v30, v30, v34
	v_mul_f32_e32 v34, 0x3f7d64f0, v4
	v_add_f32_e32 v32, v32, v36
	v_fma_f32 v36, v2, s4, -v5
	v_mul_f32_e32 v4, 0x3f0a6770, v4
	v_fmac_f32_e32 v5, 0x3f575c64, v2
	v_fmac_f32_e32 v31, 0xbf75a155, v3
	v_add_f32_e32 v0, v5, v0
	v_fma_f32 v2, v3, s4, -v4
	v_sub_f32_e32 v5, v7, v17
	v_add_f32_e32 v31, v31, v35
	v_add_f32_e32 v33, v33, v37
	v_mov_b32_e32 v35, v34
	v_mov_b32_e32 v37, v4
	v_add_f32_e32 v1, v2, v1
	v_add_f32_e32 v2, v16, v6
	v_sub_f32_e32 v4, v6, v16
	v_mul_f32_e32 v6, 0xbf7d64f0, v5
	v_fmac_f32_e32 v35, 0xbe11bafb, v3
	v_fma_f32 v34, v3, s1, -v34
	v_fmac_f32_e32 v37, 0x3f575c64, v3
	v_add_f32_e32 v3, v17, v7
	v_fma_f32 v7, v2, s1, -v6
	v_fmac_f32_e32 v6, 0xbe11bafb, v2
	v_mul_f32_e32 v16, 0xbf7d64f0, v4
	v_add_f32_e32 v6, v6, v18
	v_mul_f32_e32 v18, 0x3e903f40, v5
	v_add_f32_e32 v7, v7, v19
	v_mov_b32_e32 v17, v16
	v_fma_f32 v16, v3, s1, -v16
	v_fma_f32 v19, v2, s12, -v18
	v_fmac_f32_e32 v18, 0xbf75a155, v2
	v_fmac_f32_e32 v17, 0xbe11bafb, v3
	v_add_f32_e32 v16, v16, v20
	v_mul_f32_e32 v20, 0x3e903f40, v4
	v_add_f32_e32 v18, v18, v21
	v_mul_f32_e32 v21, 0x3f68dda4, v5
	v_add_f32_e32 v17, v17, v24
	v_add_f32_e32 v19, v19, v25
	v_mov_b32_e32 v24, v20
	v_fma_f32 v20, v3, s12, -v20
	v_fma_f32 v25, v2, s0, -v21
	v_fmac_f32_e32 v21, 0x3ed4b147, v2
	v_fmac_f32_e32 v24, 0xbf75a155, v3
	v_add_f32_e32 v20, v20, v26
	v_mul_f32_e32 v26, 0x3f68dda4, v4
	v_add_f32_e32 v21, v21, v28
	v_mul_f32_e32 v28, 0xbf0a6770, v5
	v_add_f32_e32 v24, v24, v27
	v_add_f32_e32 v25, v25, v29
	v_mov_b32_e32 v27, v26
	v_fma_f32 v26, v3, s0, -v26
	v_fma_f32 v29, v2, s4, -v28
	v_fmac_f32_e32 v28, 0x3f575c64, v2
	v_mul_f32_e32 v5, 0xbf4178ce, v5
	v_add_f32_e32 v26, v26, v30
	v_mul_f32_e32 v30, 0xbf0a6770, v4
	v_add_f32_e32 v28, v28, v32
	v_fma_f32 v32, v2, s5, -v5
	v_mul_f32_e32 v4, 0xbf4178ce, v4
	v_fmac_f32_e32 v5, 0xbf27a4f4, v2
	v_fmac_f32_e32 v27, 0x3ed4b147, v3
	v_add_f32_e32 v0, v5, v0
	v_fma_f32 v2, v3, s5, -v4
	v_sub_f32_e32 v5, v9, v15
	v_add_f32_e32 v27, v27, v31
	v_add_f32_e32 v29, v29, v33
	v_mov_b32_e32 v31, v30
	v_mov_b32_e32 v33, v4
	v_add_f32_e32 v1, v2, v1
	v_add_f32_e32 v2, v14, v8
	v_sub_f32_e32 v4, v8, v14
	v_mul_f32_e32 v8, 0xbf4178ce, v5
	v_fmac_f32_e32 v31, 0x3f575c64, v3
	v_fma_f32 v30, v3, s4, -v30
	v_fmac_f32_e32 v33, 0xbf27a4f4, v3
	v_add_f32_e32 v3, v15, v9
	v_fma_f32 v9, v2, s5, -v8
	v_add_f32_e32 v7, v9, v7
	v_mul_f32_e32 v9, 0xbf4178ce, v4
	v_fmac_f32_e32 v8, 0xbf27a4f4, v2
	v_mov_b32_e32 v14, v9
	v_add_f32_e32 v6, v8, v6
	v_fma_f32 v8, v3, s5, -v9
	v_fmac_f32_e32 v14, 0xbf27a4f4, v3
	v_add_f32_e32 v8, v8, v16
	v_mul_f32_e32 v9, 0x3f7d64f0, v5
	v_mul_f32_e32 v16, 0x3f7d64f0, v4
	v_add_f32_e32 v14, v14, v17
	v_fma_f32 v15, v2, s1, -v9
	v_mov_b32_e32 v17, v16
	v_fmac_f32_e32 v9, 0xbe11bafb, v2
	v_fma_f32 v16, v3, s1, -v16
	v_fmac_f32_e32 v17, 0xbe11bafb, v3
	v_add_f32_e32 v9, v9, v18
	v_add_f32_e32 v16, v16, v20
	v_mul_f32_e32 v18, 0xbf0a6770, v5
	v_mul_f32_e32 v20, 0xbf0a6770, v4
	v_add_f32_e32 v15, v15, v19
	v_add_f32_e32 v17, v17, v24
	v_fma_f32 v19, v2, s4, -v18
	v_mov_b32_e32 v24, v20
	v_fmac_f32_e32 v18, 0x3f575c64, v2
	v_fmac_f32_e32 v24, 0x3f575c64, v3
	v_add_f32_e32 v18, v18, v21
	v_mul_f32_e32 v21, 0xbe903f40, v5
	v_add_f32_e32 v27, v24, v27
	v_fma_f32 v20, v3, s4, -v20
	v_fma_f32 v24, v2, s12, -v21
	v_add_f32_e32 v34, v34, v38
	v_add_f32_e32 v20, v20, v26
	;; [unrolled: 1-line block ×3, first 2 shown]
	v_mul_f32_e32 v24, 0xbe903f40, v4
	v_add_f32_e32 v36, v36, v40
	v_add_f32_e32 v30, v30, v34
	;; [unrolled: 1-line block ×3, first 2 shown]
	v_mov_b32_e32 v25, v24
	v_fma_f32 v24, v3, s12, -v24
	v_mul_f32_e32 v5, 0x3f68dda4, v5
	v_add_f32_e32 v32, v32, v36
	v_add_f32_e32 v30, v24, v30
	v_fma_f32 v24, v2, s0, -v5
	v_mul_f32_e32 v4, 0x3f68dda4, v4
	v_fmac_f32_e32 v5, 0x3ed4b147, v2
	v_add_f32_e32 v36, v12, v10
	v_sub_f32_e32 v38, v10, v12
	v_sub_f32_e32 v12, v11, v13
	v_add_f32_e32 v35, v35, v39
	v_add_f32_e32 v37, v37, v41
	v_fmac_f32_e32 v21, 0xbf75a155, v2
	v_add_f32_e32 v32, v24, v32
	v_mov_b32_e32 v24, v4
	v_add_f32_e32 v34, v5, v0
	v_fma_f32 v0, v3, s0, -v4
	v_mul_f32_e32 v2, 0xbe903f40, v12
	v_add_f32_e32 v31, v31, v35
	v_add_f32_e32 v33, v33, v37
	v_fmac_f32_e32 v25, 0xbf75a155, v3
	v_fmac_f32_e32 v24, 0x3ed4b147, v3
	v_add_f32_e32 v35, v0, v1
	v_add_f32_e32 v37, v13, v11
	v_fma_f32 v0, v36, s12, -v2
	v_mul_f32_e32 v3, 0xbe903f40, v38
	v_fmac_f32_e32 v2, 0xbf75a155, v36
	v_add_f32_e32 v21, v21, v28
	v_add_f32_e32 v28, v2, v6
	v_fma_f32 v2, v37, s12, -v3
	v_mul_f32_e32 v4, 0x3f0a6770, v12
	v_mov_b32_e32 v1, v3
	v_add_f32_e32 v29, v2, v8
	v_fma_f32 v2, v36, s4, -v4
	v_mul_f32_e32 v5, 0x3f0a6770, v38
	v_fmac_f32_e32 v4, 0x3f575c64, v36
	v_add_f32_e32 v33, v24, v33
	v_add_f32_e32 v0, v0, v7
	v_fmac_f32_e32 v1, 0xbf75a155, v37
	v_add_f32_e32 v2, v2, v15
	v_add_f32_e32 v24, v4, v9
	v_fma_f32 v4, v37, s4, -v5
	v_mul_f32_e32 v6, 0xbf4178ce, v12
	v_mul_f32_e32 v7, 0xbf4178ce, v38
	;; [unrolled: 1-line block ×5, first 2 shown]
	v_add_f32_e32 v31, v25, v31
	v_add_f32_e32 v1, v1, v14
	v_mov_b32_e32 v3, v5
	v_add_f32_e32 v25, v4, v16
	v_fma_f32 v4, v36, s5, -v6
	v_mov_b32_e32 v5, v7
	v_fma_f32 v8, v36, s0, -v10
	v_mov_b32_e32 v9, v11
	v_mul_f32_e32 v14, 0xbf7d64f0, v12
	v_mov_b32_e32 v13, v15
	v_mul_lo_u16_e32 v16, 11, v114
	v_fmac_f32_e32 v3, 0x3f575c64, v37
	v_add_f32_e32 v4, v4, v19
	v_fmac_f32_e32 v5, 0xbf27a4f4, v37
	v_fmac_f32_e32 v6, 0xbf27a4f4, v36
	v_fma_f32 v7, v37, s5, -v7
	v_add_f32_e32 v8, v8, v26
	v_fmac_f32_e32 v9, 0x3ed4b147, v37
	v_fmac_f32_e32 v10, 0x3ed4b147, v36
	v_fma_f32 v11, v37, s0, -v11
	v_fma_f32 v12, v36, s1, -v14
	v_fmac_f32_e32 v13, 0xbe11bafb, v37
	v_fmac_f32_e32 v14, 0xbe11bafb, v36
	v_fma_f32 v15, v37, s1, -v15
	v_lshlrev_b32_e32 v71, 3, v16
	v_add_f32_e32 v3, v3, v17
	v_add_f32_e32 v5, v5, v27
	;; [unrolled: 1-line block ×11, first 2 shown]
	s_barrier
	ds_write2_b64 v71, v[22:23], v[0:1] offset1:1
	ds_write2_b64 v71, v[2:3], v[4:5] offset0:2 offset1:3
	ds_write2_b64 v71, v[8:9], v[12:13] offset0:4 offset1:5
	;; [unrolled: 1-line block ×4, first 2 shown]
	ds_write_b64 v71, v[28:29] offset:80
	v_add_u32_e32 v4, 0x1200, v113
	v_add_u32_e32 v8, 0x2400, v113
	s_waitcnt lgkmcnt(0)
	s_barrier
	ds_read2_b64 v[0:3], v113 offset1:165
	ds_read2_b64 v[4:7], v4 offset0:29 offset1:194
	ds_read2_b64 v[14:17], v8 offset0:58 offset1:223
	ds_read_b64 v[26:27], v113 offset:2640
	ds_read_b64 v[22:23], v113 offset:7480
	ds_read_b64 v[20:21], v113 offset:12320
	s_movk_i32 s0, 0x6e
	v_cmp_gt_u16_e64 s[0:1], s0, v114
                                        ; implicit-def: $vgpr30
	s_and_saveexec_b64 s[4:5], s[0:1]
	s_cbranch_execz .LBB0_3
; %bb.2:
	ds_read_b64 v[24:25], v113 offset:3960
	ds_read_b64 v[28:29], v113 offset:8800
	;; [unrolled: 1-line block ×3, first 2 shown]
.LBB0_3:
	s_or_b64 exec, exec, s[4:5]
	s_movk_i32 s4, 0x75
	v_mul_lo_u16_sdwa v8, v114, s4 dst_sel:DWORD dst_unused:UNUSED_PAD src0_sel:BYTE_0 src1_sel:DWORD
	v_sub_u16_sdwa v9, v114, v8 dst_sel:DWORD dst_unused:UNUSED_PAD src0_sel:DWORD src1_sel:BYTE_1
	v_lshrrev_b16_e32 v9, 1, v9
	v_and_b32_e32 v9, 0x7f, v9
	v_add_u16_sdwa v8, v9, v8 dst_sel:DWORD dst_unused:UNUSED_PAD src0_sel:DWORD src1_sel:BYTE_1
	v_lshrrev_b16_e32 v43, 3, v8
	v_mul_lo_u16_e32 v8, 11, v43
	v_sub_u16_e32 v8, v114, v8
	v_and_b32_e32 v44, 0xff, v8
	v_lshlrev_b32_e32 v8, 4, v44
	global_load_dwordx4 v[8:11], v8, s[14:15]
	v_add_co_u32_e32 v32, vcc, 0xa5, v114
	s_mov_b32 s4, 0xba2f
	s_waitcnt vmcnt(0) lgkmcnt(4)
	v_mul_f32_e32 v12, v5, v9
	v_fma_f32 v34, v4, v8, -v12
	v_mul_f32_e32 v35, v4, v9
	s_waitcnt lgkmcnt(3)
	v_mul_f32_e32 v4, v15, v11
	v_fma_f32 v36, v14, v10, -v4
	v_mul_u32_u24_sdwa v4, v32, s4 dst_sel:DWORD dst_unused:UNUSED_PAD src0_sel:WORD_0 src1_sel:DWORD
	v_lshrrev_b32_e32 v45, 19, v4
	v_mul_lo_u16_e32 v4, 11, v45
	v_sub_u16_e32 v46, v32, v4
	v_lshlrev_b16_e32 v4, 1, v46
	v_mul_f32_e32 v37, v14, v11
	v_lshlrev_b32_e32 v4, 3, v4
	v_fmac_f32_e32 v37, v15, v10
	global_load_dwordx4 v[12:15], v4, s[14:15]
	v_fmac_f32_e32 v35, v5, v8
	s_waitcnt vmcnt(0)
	v_mul_f32_e32 v4, v7, v13
	v_fma_f32 v38, v6, v12, -v4
	v_mul_f32_e32 v4, v17, v15
	v_fma_f32 v40, v16, v14, -v4
	v_add_u16_e32 v4, 0x14a, v114
	v_mul_u32_u24_e32 v5, 0xba2f, v4
	v_lshrrev_b32_e32 v47, 19, v5
	v_mul_lo_u16_e32 v5, 11, v47
	v_sub_u16_e32 v48, v4, v5
	v_lshlrev_b16_e32 v5, 1, v48
	v_mul_f32_e32 v41, v16, v15
	v_lshlrev_b32_e32 v5, 3, v5
	v_fmac_f32_e32 v41, v17, v14
	global_load_dwordx4 v[16:19], v5, s[14:15]
	v_mul_f32_e32 v39, v6, v13
	v_fmac_f32_e32 v39, v7, v12
	s_waitcnt vmcnt(0) lgkmcnt(1)
	v_mul_f32_e32 v5, v23, v17
	v_fma_f32 v42, v22, v16, -v5
	s_waitcnt lgkmcnt(0)
	v_mul_f32_e32 v5, v21, v19
	v_fma_f32 v50, v20, v18, -v5
	v_add_u16_e32 v5, 0x1ef, v114
	v_mul_u32_u24_e32 v6, 0xba2f, v5
	v_lshrrev_b32_e32 v115, 19, v6
	v_mul_lo_u16_e32 v6, 11, v115
	v_sub_u16_e32 v116, v5, v6
	v_lshlrev_b16_e32 v5, 1, v116
	v_mul_f32_e32 v49, v22, v17
	v_mul_f32_e32 v51, v20, v19
	v_lshlrev_b32_e32 v5, 3, v5
	v_fmac_f32_e32 v49, v23, v16
	v_fmac_f32_e32 v51, v21, v18
	global_load_dwordx4 v[20:23], v5, s[14:15]
	s_waitcnt vmcnt(0)
	s_barrier
	v_mul_f32_e32 v5, v29, v21
	v_mul_f32_e32 v7, v31, v23
	v_fma_f32 v5, v28, v20, -v5
	v_mul_f32_e32 v6, v28, v21
	v_fma_f32 v7, v30, v22, -v7
	v_mul_f32_e32 v28, v30, v23
	v_add_f32_e32 v30, v34, v36
	v_fmac_f32_e32 v6, v29, v20
	v_add_f32_e32 v29, v0, v34
	v_fma_f32 v0, -0.5, v30, v0
	v_fmac_f32_e32 v28, v31, v22
	v_sub_f32_e32 v30, v35, v37
	v_mov_b32_e32 v33, v0
	v_add_f32_e32 v31, v35, v37
	v_fmac_f32_e32 v33, 0x3f5db3d7, v30
	v_fmac_f32_e32 v0, 0xbf5db3d7, v30
	v_add_f32_e32 v30, v1, v35
	v_fma_f32 v1, -0.5, v31, v1
	v_sub_f32_e32 v31, v34, v36
	v_mov_b32_e32 v34, v1
	v_fmac_f32_e32 v34, 0xbf5db3d7, v31
	v_fmac_f32_e32 v1, 0x3f5db3d7, v31
	v_add_f32_e32 v31, v2, v38
	v_add_f32_e32 v35, v31, v40
	;; [unrolled: 1-line block ×3, first 2 shown]
	v_fma_f32 v2, -0.5, v31, v2
	v_add_f32_e32 v30, v30, v37
	v_sub_f32_e32 v31, v39, v41
	v_mov_b32_e32 v37, v2
	v_fmac_f32_e32 v37, 0x3f5db3d7, v31
	v_fmac_f32_e32 v2, 0xbf5db3d7, v31
	v_add_f32_e32 v31, v3, v39
	v_add_f32_e32 v29, v29, v36
	;; [unrolled: 1-line block ×4, first 2 shown]
	v_fmac_f32_e32 v3, -0.5, v31
	v_sub_f32_e32 v31, v38, v40
	v_mov_b32_e32 v38, v3
	v_fmac_f32_e32 v38, 0xbf5db3d7, v31
	v_fmac_f32_e32 v3, 0x3f5db3d7, v31
	v_add_f32_e32 v31, v26, v42
	v_add_f32_e32 v39, v31, v50
	;; [unrolled: 1-line block ×3, first 2 shown]
	v_fma_f32 v26, -0.5, v31, v26
	v_sub_f32_e32 v31, v49, v51
	v_mov_b32_e32 v41, v26
	v_fmac_f32_e32 v41, 0x3f5db3d7, v31
	v_fmac_f32_e32 v26, 0xbf5db3d7, v31
	v_add_f32_e32 v31, v27, v49
	v_add_f32_e32 v40, v31, v51
	;; [unrolled: 1-line block ×3, first 2 shown]
	v_fmac_f32_e32 v27, -0.5, v31
	v_sub_f32_e32 v31, v42, v50
	v_mov_b32_e32 v42, v27
	v_fmac_f32_e32 v42, 0xbf5db3d7, v31
	v_fmac_f32_e32 v27, 0x3f5db3d7, v31
	v_add_f32_e32 v31, v5, v7
	v_fma_f32 v62, -0.5, v31, v24
	v_sub_f32_e32 v31, v6, v28
	v_mov_b32_e32 v60, v62
	v_fmac_f32_e32 v60, 0x3f5db3d7, v31
	v_fmac_f32_e32 v62, 0xbf5db3d7, v31
	v_add_f32_e32 v31, v6, v28
	v_fma_f32 v63, -0.5, v31, v25
	v_sub_f32_e32 v31, v5, v7
	v_mov_b32_e32 v61, v63
	v_fmac_f32_e32 v61, 0xbf5db3d7, v31
	v_fmac_f32_e32 v63, 0x3f5db3d7, v31
	v_mul_u32_u24_e32 v31, 33, v43
	v_add_lshl_u32 v117, v31, v44, 3
	ds_write2_b64 v117, v[29:30], v[33:34] offset1:11
	ds_write_b64 v117, v[0:1] offset:176
	v_mad_legacy_u16 v0, v45, 33, v46
	v_lshlrev_b32_e32 v118, 3, v0
	v_mad_legacy_u16 v0, v47, 33, v48
	v_lshlrev_b32_e32 v119, 3, v0
	ds_write2_b64 v118, v[35:36], v[37:38] offset1:11
	ds_write_b64 v118, v[2:3] offset:176
	ds_write2_b64 v119, v[39:40], v[41:42] offset1:11
	ds_write_b64 v119, v[26:27] offset:176
	s_and_saveexec_b64 s[4:5], s[0:1]
	s_cbranch_execz .LBB0_5
; %bb.4:
	v_add_f32_e32 v0, v25, v6
	v_add_f32_e32 v1, v0, v28
	;; [unrolled: 1-line block ×3, first 2 shown]
	v_mad_legacy_u16 v2, v115, 33, v116
	v_add_f32_e32 v0, v0, v7
	v_lshlrev_b32_e32 v2, 3, v2
	ds_write2_b64 v2, v[0:1], v[60:61] offset1:11
	ds_write_b64 v2, v[62:63] offset:176
.LBB0_5:
	s_or_b64 exec, exec, s[4:5]
	v_add_u32_e32 v0, 0xa00, v113
	s_waitcnt lgkmcnt(0)
	s_barrier
	ds_read2_b64 v[44:47], v0 offset0:43 offset1:208
	v_add_u32_e32 v0, 0x1400, v113
	ds_read2_b64 v[48:51], v0 offset0:86 offset1:251
	v_add_u32_e32 v0, 0x2000, v113
	;; [unrolled: 2-line block ×3, first 2 shown]
	ds_read2_b64 v[40:43], v113 offset1:165
	ds_read2_b64 v[56:59], v0 offset0:44 offset1:209
	v_cmp_gt_u16_e32 vcc, 33, v114
                                        ; implicit-def: $vgpr64
                                        ; implicit-def: $vgpr66
                                        ; implicit-def: $vgpr68
	s_and_saveexec_b64 s[4:5], vcc
	s_cbranch_execz .LBB0_7
; %bb.6:
	ds_read_b64 v[60:61], v113 offset:2640
	ds_read_b64 v[62:63], v113 offset:5544
	;; [unrolled: 1-line block ×5, first 2 shown]
.LBB0_7:
	s_or_b64 exec, exec, s[4:5]
	s_movk_i32 s4, 0xf9
	v_mul_lo_u16_sdwa v0, v114, s4 dst_sel:DWORD dst_unused:UNUSED_PAD src0_sel:BYTE_0 src1_sel:DWORD
	v_lshrrev_b16_e32 v107, 13, v0
	v_mul_u32_u24_e32 v0, 0xf83f, v4
	v_lshrrev_b32_e32 v0, 21, v0
	v_mul_lo_u16_e32 v0, 33, v0
	v_sub_u16_e32 v108, v4, v0
	v_lshlrev_b16_e32 v0, 5, v108
	v_mov_b32_e32 v27, s15
	v_add_co_u32_e64 v24, s[4:5], s14, v0
	v_mul_lo_u16_e32 v26, 33, v107
	v_addc_co_u32_e64 v25, s[4:5], 0, v27, s[4:5]
	global_load_dwordx4 v[0:3], v[24:25], off offset:192
	global_load_dwordx4 v[4:7], v[24:25], off offset:176
	v_sub_u16_e32 v24, v114, v26
	v_and_b32_e32 v109, 0xff, v24
	v_lshlrev_b32_e32 v24, 5, v109
	s_mov_b32 s4, 0xf83f
	global_load_dwordx4 v[28:31], v24, s[14:15] offset:192
	global_load_dwordx4 v[36:39], v24, s[14:15] offset:176
	v_mul_u32_u24_sdwa v24, v32, s4 dst_sel:DWORD dst_unused:UNUSED_PAD src0_sel:WORD_0 src1_sel:DWORD
	v_lshrrev_b32_e32 v110, 21, v24
	v_mul_lo_u16_e32 v24, 33, v110
	v_sub_u16_e32 v111, v32, v24
	v_lshlrev_b16_e32 v24, 5, v111
	v_add_co_u32_e64 v95, s[4:5], s14, v24
	v_addc_co_u32_e64 v96, s[4:5], 0, v27, s[4:5]
	global_load_dwordx4 v[32:35], v[95:96], off offset:176
	global_load_dwordx4 v[24:27], v[95:96], off offset:192
	s_movk_i32 s4, 0xa5
	s_waitcnt vmcnt(0) lgkmcnt(0)
	s_barrier
	v_mul_f32_e32 v97, v67, v1
	v_mul_f32_e32 v103, v62, v5
	;; [unrolled: 1-line block ×11, first 2 shown]
	v_fmac_f32_e32 v103, v63, v4
	v_fma_f32 v63, v64, v6, -v96
	v_fma_f32 v64, v66, v0, -v97
	v_fmac_f32_e32 v105, v67, v0
	v_fma_f32 v66, v44, v36, -v99
	v_fma_f32 v67, v48, v38, -v101
	;; [unrolled: 1-line block ×3, first 2 shown]
	v_mul_f32_e32 v122, v56, v31
	v_mul_f32_e32 v123, v47, v33
	v_fmac_f32_e32 v100, v45, v36
	v_add_f32_e32 v44, v40, v66
	v_add_f32_e32 v45, v67, v52
	v_mul_f32_e32 v102, v48, v39
	v_mul_f32_e32 v121, v57, v31
	;; [unrolled: 1-line block ×3, first 2 shown]
	v_fmac_f32_e32 v122, v57, v30
	v_fma_f32 v57, v46, v32, -v123
	v_add_f32_e32 v46, v44, v67
	v_fma_f32 v44, -0.5, v45, v40
	v_mul_f32_e32 v98, v69, v3
	v_mul_f32_e32 v125, v51, v35
	;; [unrolled: 1-line block ×3, first 2 shown]
	v_fmac_f32_e32 v102, v49, v38
	v_fmac_f32_e32 v120, v53, v28
	v_fma_f32 v53, v56, v30, -v121
	v_fmac_f32_e32 v124, v47, v32
	v_sub_f32_e32 v47, v100, v122
	v_add_f32_e32 v45, v46, v52
	v_mov_b32_e32 v46, v44
	v_mul_f32_e32 v106, v68, v3
	v_fmac_f32_e32 v104, v65, v6
	v_fma_f32 v65, v68, v2, -v98
	v_fma_f32 v68, v50, v34, -v125
	v_fmac_f32_e32 v126, v51, v34
	v_sub_f32_e32 v49, v102, v120
	v_sub_f32_e32 v50, v66, v67
	;; [unrolled: 1-line block ×3, first 2 shown]
	v_fmac_f32_e32 v46, 0x3f737871, v47
	v_fmac_f32_e32 v44, 0xbf737871, v47
	v_add_f32_e32 v48, v45, v53
	v_fmac_f32_e32 v46, 0x3f167918, v49
	v_add_f32_e32 v45, v50, v51
	v_fmac_f32_e32 v44, 0xbf167918, v49
	v_fmac_f32_e32 v46, 0x3e9e377a, v45
	;; [unrolled: 1-line block ×3, first 2 shown]
	v_add_f32_e32 v45, v66, v53
	v_fma_f32 v40, -0.5, v45, v40
	v_mov_b32_e32 v50, v40
	v_fmac_f32_e32 v50, 0xbf737871, v49
	v_sub_f32_e32 v45, v67, v66
	v_sub_f32_e32 v51, v52, v53
	v_fmac_f32_e32 v40, 0x3f737871, v49
	v_fmac_f32_e32 v50, 0x3f167918, v47
	v_add_f32_e32 v45, v45, v51
	v_fmac_f32_e32 v40, 0xbf167918, v47
	v_fmac_f32_e32 v50, 0x3e9e377a, v45
	;; [unrolled: 1-line block ×3, first 2 shown]
	v_add_f32_e32 v45, v41, v100
	v_add_f32_e32 v45, v45, v102
	;; [unrolled: 1-line block ×5, first 2 shown]
	v_fma_f32 v45, -0.5, v45, v41
	v_fma_f32 v62, v62, v4, -v95
	v_mul_f32_e32 v95, v55, v25
	v_sub_f32_e32 v53, v66, v53
	v_mov_b32_e32 v47, v45
	v_mul_f32_e32 v127, v54, v25
	v_fmac_f32_e32 v106, v69, v2
	v_fma_f32 v69, v54, v24, -v95
	v_fmac_f32_e32 v47, 0xbf737871, v53
	v_sub_f32_e32 v52, v67, v52
	v_sub_f32_e32 v51, v100, v102
	;; [unrolled: 1-line block ×3, first 2 shown]
	v_fmac_f32_e32 v45, 0x3f737871, v53
	v_fmac_f32_e32 v47, 0xbf167918, v52
	v_add_f32_e32 v51, v51, v54
	v_fmac_f32_e32 v45, 0x3f167918, v52
	v_fmac_f32_e32 v47, 0x3e9e377a, v51
	;; [unrolled: 1-line block ×3, first 2 shown]
	v_add_f32_e32 v51, v100, v122
	v_fma_f32 v41, -0.5, v51, v41
	v_mov_b32_e32 v51, v41
	v_fmac_f32_e32 v127, v55, v24
	v_fmac_f32_e32 v51, 0x3f737871, v52
	v_sub_f32_e32 v54, v102, v100
	v_sub_f32_e32 v55, v120, v122
	v_fmac_f32_e32 v41, 0xbf737871, v52
	v_mul_f32_e32 v128, v58, v27
	v_fmac_f32_e32 v51, 0xbf167918, v53
	v_add_f32_e32 v54, v54, v55
	v_fmac_f32_e32 v41, 0x3f167918, v53
	v_add_f32_e32 v53, v68, v69
	v_mul_f32_e32 v96, v59, v27
	v_fmac_f32_e32 v128, v59, v26
	v_fmac_f32_e32 v51, 0x3e9e377a, v54
	;; [unrolled: 1-line block ×3, first 2 shown]
	v_fma_f32 v54, -0.5, v53, v42
	v_fma_f32 v95, v58, v26, -v96
	v_sub_f32_e32 v53, v124, v128
	v_mov_b32_e32 v56, v54
	v_fmac_f32_e32 v56, 0x3f737871, v53
	v_sub_f32_e32 v55, v126, v127
	v_sub_f32_e32 v58, v57, v68
	;; [unrolled: 1-line block ×3, first 2 shown]
	v_fmac_f32_e32 v54, 0xbf737871, v53
	v_fmac_f32_e32 v56, 0x3f167918, v55
	v_add_f32_e32 v58, v58, v59
	v_fmac_f32_e32 v54, 0xbf167918, v55
	v_fmac_f32_e32 v56, 0x3e9e377a, v58
	v_fmac_f32_e32 v54, 0x3e9e377a, v58
	v_add_f32_e32 v58, v57, v95
	v_add_f32_e32 v52, v42, v57
	v_fma_f32 v42, -0.5, v58, v42
	v_mov_b32_e32 v58, v42
	v_fmac_f32_e32 v58, 0xbf737871, v55
	v_fmac_f32_e32 v42, 0x3f737871, v55
	v_add_f32_e32 v55, v126, v127
	v_sub_f32_e32 v59, v68, v57
	v_sub_f32_e32 v66, v69, v95
	v_fma_f32 v55, -0.5, v55, v43
	v_fmac_f32_e32 v58, 0x3f167918, v53
	v_add_f32_e32 v59, v59, v66
	v_fmac_f32_e32 v42, 0xbf167918, v53
	v_sub_f32_e32 v66, v57, v95
	v_mov_b32_e32 v57, v55
	v_add_f32_e32 v52, v52, v68
	v_fmac_f32_e32 v58, 0x3e9e377a, v59
	v_fmac_f32_e32 v42, 0x3e9e377a, v59
	;; [unrolled: 1-line block ×3, first 2 shown]
	v_sub_f32_e32 v67, v68, v69
	v_sub_f32_e32 v59, v124, v126
	;; [unrolled: 1-line block ×3, first 2 shown]
	v_fmac_f32_e32 v55, 0x3f737871, v66
	v_fmac_f32_e32 v57, 0xbf167918, v67
	v_add_f32_e32 v59, v59, v68
	v_fmac_f32_e32 v55, 0x3f167918, v67
	v_fmac_f32_e32 v57, 0x3e9e377a, v59
	;; [unrolled: 1-line block ×3, first 2 shown]
	v_add_f32_e32 v59, v124, v128
	v_add_f32_e32 v53, v43, v124
	v_fmac_f32_e32 v43, -0.5, v59
	v_mov_b32_e32 v59, v43
	v_fmac_f32_e32 v59, 0x3f737871, v67
	v_fmac_f32_e32 v43, 0xbf737871, v67
	v_add_f32_e32 v52, v52, v69
	v_fmac_f32_e32 v59, 0xbf167918, v66
	v_fmac_f32_e32 v43, 0x3f167918, v66
	v_add_f32_e32 v66, v63, v64
	v_add_f32_e32 v52, v52, v95
	v_sub_f32_e32 v68, v126, v124
	v_sub_f32_e32 v69, v127, v128
	v_fma_f32 v95, -0.5, v66, v60
	v_add_f32_e32 v68, v68, v69
	v_sub_f32_e32 v66, v103, v106
	v_mov_b32_e32 v101, v95
	v_fmac_f32_e32 v59, 0x3e9e377a, v68
	v_fmac_f32_e32 v43, 0x3e9e377a, v68
	;; [unrolled: 1-line block ×3, first 2 shown]
	v_sub_f32_e32 v67, v104, v105
	v_sub_f32_e32 v68, v62, v63
	;; [unrolled: 1-line block ×3, first 2 shown]
	v_fmac_f32_e32 v95, 0xbf737871, v66
	v_fmac_f32_e32 v101, 0x3f167918, v67
	v_add_f32_e32 v68, v68, v69
	v_fmac_f32_e32 v95, 0xbf167918, v67
	v_fmac_f32_e32 v101, 0x3e9e377a, v68
	;; [unrolled: 1-line block ×3, first 2 shown]
	v_add_f32_e32 v68, v62, v65
	v_fma_f32 v97, -0.5, v68, v60
	v_mov_b32_e32 v99, v97
	v_fmac_f32_e32 v99, 0xbf737871, v67
	v_fmac_f32_e32 v97, 0x3f737871, v67
	;; [unrolled: 1-line block ×4, first 2 shown]
	v_add_f32_e32 v66, v104, v105
	v_sub_f32_e32 v68, v63, v62
	v_sub_f32_e32 v69, v64, v65
	v_fma_f32 v96, -0.5, v66, v61
	v_add_f32_e32 v68, v68, v69
	v_sub_f32_e32 v66, v62, v65
	v_mov_b32_e32 v102, v96
	v_fmac_f32_e32 v99, 0x3e9e377a, v68
	v_fmac_f32_e32 v97, 0x3e9e377a, v68
	v_fmac_f32_e32 v102, 0xbf737871, v66
	v_sub_f32_e32 v67, v63, v64
	v_sub_f32_e32 v68, v103, v104
	v_sub_f32_e32 v69, v106, v105
	v_fmac_f32_e32 v96, 0x3f737871, v66
	v_fmac_f32_e32 v102, 0xbf167918, v67
	v_add_f32_e32 v68, v68, v69
	v_fmac_f32_e32 v96, 0x3f167918, v67
	v_fmac_f32_e32 v102, 0x3e9e377a, v68
	;; [unrolled: 1-line block ×3, first 2 shown]
	v_add_f32_e32 v68, v103, v106
	v_fma_f32 v98, -0.5, v68, v61
	v_mov_b32_e32 v100, v98
	v_fmac_f32_e32 v100, 0x3f737871, v67
	v_fmac_f32_e32 v98, 0xbf737871, v67
	;; [unrolled: 1-line block ×4, first 2 shown]
	v_mul_u32_u24_e32 v66, 0xa5, v107
	v_add_f32_e32 v53, v53, v126
	v_sub_f32_e32 v68, v104, v103
	v_sub_f32_e32 v69, v105, v106
	v_add_lshl_u32 v121, v66, v109, 3
	v_add_f32_e32 v53, v53, v127
	v_add_f32_e32 v68, v68, v69
	ds_write2_b64 v121, v[48:49], v[46:47] offset1:33
	ds_write2_b64 v121, v[50:51], v[40:41] offset0:66 offset1:99
	ds_write_b64 v121, v[44:45] offset:1056
	v_mad_legacy_u16 v40, v110, s4, v111
	v_add_f32_e32 v53, v53, v128
	v_fmac_f32_e32 v100, 0x3e9e377a, v68
	v_fmac_f32_e32 v98, 0x3e9e377a, v68
	v_lshlrev_b32_e32 v122, 3, v40
	v_lshlrev_b32_e32 v120, 3, v108
	ds_write2_b64 v122, v[52:53], v[56:57] offset1:33
	ds_write2_b64 v122, v[58:59], v[42:43] offset0:66 offset1:99
	ds_write_b64 v122, v[54:55] offset:1056
	s_and_saveexec_b64 s[4:5], vcc
	s_cbranch_execz .LBB0_9
; %bb.8:
	v_add_f32_e32 v40, v61, v103
	v_add_f32_e32 v40, v40, v104
	;; [unrolled: 1-line block ×8, first 2 shown]
	v_add_u32_e32 v42, 0x3000, v120
	ds_write2_b64 v42, v[40:41], v[101:102] offset0:114 offset1:147
	ds_write2_b64 v42, v[99:100], v[97:98] offset0:180 offset1:213
	ds_write_b64 v120, v[95:96] offset:14256
.LBB0_9:
	s_or_b64 exec, exec, s[4:5]
	v_mov_b32_e32 v41, s15
	s_movk_i32 s4, 0x50
	v_mov_b32_e32 v40, s14
	v_mad_u64_u32 v[60:61], s[4:5], v114, s4, v[40:41]
	s_waitcnt lgkmcnt(0)
	s_barrier
	global_load_dwordx4 v[52:55], v[60:61], off offset:1232
	global_load_dwordx4 v[48:51], v[60:61], off offset:1248
	;; [unrolled: 1-line block ×5, first 2 shown]
	ds_read2_b64 v[65:68], v113 offset1:165
	ds_read_b64 v[111:112], v113 offset:13200
	v_add_u32_e32 v63, 0x800, v113
	v_add_u32_e32 v62, 0x1400, v113
	v_add_u32_e32 v61, 0x1e00, v113
	v_add_u32_e32 v60, 0x2800, v113
	ds_read2_b64 v[103:106], v63 offset0:74 offset1:239
	ds_read2_b64 v[107:110], v62 offset0:20 offset1:185
	;; [unrolled: 1-line block ×4, first 2 shown]
	s_mov_b32 s4, 0x3f575c64
	v_mov_b32_e32 v64, s13
	s_mov_b32 s5, 0x3ed4b147
	s_mov_b32 s12, 0xbe11bafb
	;; [unrolled: 1-line block ×4, first 2 shown]
	v_addc_co_u32_e64 v64, s[2:3], 0, v64, s[2:3]
	s_movk_i32 s2, 0x3000
	s_movk_i32 s15, 0x38b8
	s_waitcnt vmcnt(4) lgkmcnt(5)
	v_mul_f32_e32 v69, v68, v53
	v_mul_f32_e32 v131, v67, v53
	s_waitcnt lgkmcnt(3)
	v_mul_f32_e32 v132, v104, v55
	v_mul_f32_e32 v133, v103, v55
	s_waitcnt vmcnt(2) lgkmcnt(2)
	v_mul_f32_e32 v139, v109, v45
	s_waitcnt vmcnt(0)
	v_mul_f32_e32 v148, v112, v59
	v_fma_f32 v67, v67, v52, -v69
	v_fmac_f32_e32 v131, v68, v52
	v_mul_f32_e32 v134, v106, v49
	v_mul_f32_e32 v135, v105, v49
	;; [unrolled: 1-line block ×3, first 2 shown]
	s_waitcnt lgkmcnt(1)
	v_mul_f32_e32 v141, v123, v47
	v_mul_f32_e32 v149, v111, v59
	v_fma_f32 v69, v103, v54, -v132
	v_fmac_f32_e32 v133, v104, v54
	v_fmac_f32_e32 v139, v110, v44
	v_fma_f32 v68, v111, v58, -v148
	v_add_f32_e32 v110, v65, v67
	v_add_f32_e32 v111, v66, v131
	v_mul_f32_e32 v136, v108, v51
	v_mul_f32_e32 v137, v107, v51
	;; [unrolled: 1-line block ×3, first 2 shown]
	v_fma_f32 v103, v105, v48, -v134
	v_fmac_f32_e32 v135, v106, v48
	v_fmac_f32_e32 v141, v124, v46
	;; [unrolled: 1-line block ×3, first 2 shown]
	v_add_f32_e32 v112, v67, v68
	v_sub_f32_e32 v124, v67, v68
	v_add_f32_e32 v67, v110, v69
	v_add_f32_e32 v110, v111, v133
	v_fma_f32 v104, v107, v50, -v136
	v_fmac_f32_e32 v137, v108, v50
	v_add_f32_e32 v67, v67, v103
	v_add_f32_e32 v110, v110, v135
	v_fma_f32 v105, v109, v44, -v138
	v_add_f32_e32 v67, v67, v104
	v_add_f32_e32 v110, v110, v137
	v_mul_f32_e32 v142, v126, v41
	v_mul_f32_e32 v143, v125, v41
	v_fma_f32 v106, v123, v46, -v140
	v_add_f32_e32 v67, v67, v105
	v_add_f32_e32 v110, v110, v139
	s_waitcnt lgkmcnt(0)
	v_mul_f32_e32 v144, v128, v43
	v_mul_f32_e32 v145, v127, v43
	v_fma_f32 v107, v125, v40, -v142
	v_fmac_f32_e32 v143, v126, v40
	v_add_f32_e32 v67, v67, v106
	v_add_f32_e32 v110, v110, v141
	v_mul_f32_e32 v146, v130, v57
	v_mul_f32_e32 v147, v129, v57
	v_fma_f32 v108, v127, v42, -v144
	v_fmac_f32_e32 v145, v128, v42
	v_sub_f32_e32 v125, v131, v149
	v_add_f32_e32 v67, v67, v107
	v_add_f32_e32 v110, v110, v143
	v_fma_f32 v109, v129, v56, -v146
	v_fmac_f32_e32 v147, v130, v56
	v_mul_f32_e32 v111, 0xbf0a6770, v125
	v_add_f32_e32 v67, v67, v108
	v_add_f32_e32 v110, v110, v145
	;; [unrolled: 1-line block ×3, first 2 shown]
	v_mul_f32_e32 v126, 0xbf0a6770, v124
	v_fma_f32 v127, v112, s4, -v111
	v_add_f32_e32 v67, v67, v109
	v_add_f32_e32 v110, v110, v147
	v_fmac_f32_e32 v111, 0x3f575c64, v112
	v_mul_f32_e32 v130, 0xbf68dda4, v124
	v_mul_f32_e32 v136, 0xbf7d64f0, v124
	;; [unrolled: 1-line block ×4, first 2 shown]
	v_mov_b32_e32 v128, v126
	v_add_f32_e32 v67, v67, v68
	v_add_f32_e32 v68, v110, v149
	;; [unrolled: 1-line block ×3, first 2 shown]
	v_fma_f32 v111, v123, s4, -v126
	v_mul_f32_e32 v126, 0xbf68dda4, v125
	v_mov_b32_e32 v131, v130
	v_mul_f32_e32 v132, 0xbf7d64f0, v125
	v_mov_b32_e32 v138, v136
	;; [unrolled: 2-line block ×4, first 2 shown]
	v_fmac_f32_e32 v128, 0x3f575c64, v123
	v_fma_f32 v129, v112, s5, -v126
	v_fmac_f32_e32 v131, 0x3ed4b147, v123
	v_fmac_f32_e32 v126, 0x3ed4b147, v112
	v_fma_f32 v130, v123, s5, -v130
	v_fma_f32 v134, v112, s12, -v132
	v_fmac_f32_e32 v138, 0xbe11bafb, v123
	v_fmac_f32_e32 v132, 0xbe11bafb, v112
	v_fma_f32 v136, v123, s12, -v136
	;; [unrolled: 4-line block ×4, first 2 shown]
	v_add_f32_e32 v128, v66, v128
	v_add_f32_e32 v111, v66, v111
	;; [unrolled: 1-line block ×11, first 2 shown]
	v_sub_f32_e32 v69, v69, v109
	v_sub_f32_e32 v109, v133, v147
	v_mul_f32_e32 v124, 0xbf68dda4, v109
	v_add_f32_e32 v127, v65, v127
	v_add_f32_e32 v129, v65, v129
	;; [unrolled: 1-line block ×9, first 2 shown]
	v_fma_f32 v125, v112, s5, -v124
	v_add_f32_e32 v123, v133, v147
	v_add_f32_e32 v125, v125, v127
	v_mul_f32_e32 v127, 0xbf68dda4, v69
	v_fmac_f32_e32 v124, 0x3ed4b147, v112
	v_add_f32_e32 v110, v124, v110
	v_fma_f32 v124, v123, s5, -v127
	v_add_f32_e32 v111, v124, v111
	v_mul_f32_e32 v124, 0xbf4178ce, v109
	v_mov_b32_e32 v133, v127
	v_fma_f32 v127, v112, s13, -v124
	v_fmac_f32_e32 v133, 0x3ed4b147, v123
	v_add_f32_e32 v127, v127, v129
	v_mul_f32_e32 v129, 0xbf4178ce, v69
	v_add_f32_e32 v128, v133, v128
	v_mov_b32_e32 v133, v129
	v_fmac_f32_e32 v124, 0xbf27a4f4, v112
	v_fmac_f32_e32 v133, 0xbf27a4f4, v123
	v_add_f32_e32 v124, v124, v126
	v_fma_f32 v126, v123, s13, -v129
	v_mul_f32_e32 v129, 0x3e903f40, v109
	v_add_f32_e32 v131, v133, v131
	v_add_f32_e32 v126, v126, v130
	v_fma_f32 v130, v112, s14, -v129
	v_mul_f32_e32 v133, 0x3e903f40, v69
	v_add_f32_e32 v130, v130, v134
	v_mov_b32_e32 v134, v133
	v_fmac_f32_e32 v129, 0xbf75a155, v112
	v_fmac_f32_e32 v134, 0xbf75a155, v123
	v_add_f32_e32 v129, v129, v132
	v_fma_f32 v132, v123, s14, -v133
	v_mul_f32_e32 v133, 0x3f7d64f0, v109
	v_add_f32_e32 v134, v134, v138
	v_add_f32_e32 v132, v132, v136
	v_fma_f32 v136, v112, s12, -v133
	v_mul_f32_e32 v138, 0x3f7d64f0, v69
	v_add_f32_e32 v136, v136, v142
	v_mov_b32_e32 v142, v138
	v_fma_f32 v138, v123, s12, -v138
	v_mul_f32_e32 v69, 0x3f0a6770, v69
	v_add_f32_e32 v138, v138, v144
	v_mov_b32_e32 v144, v69
	v_fma_f32 v69, v123, s4, -v69
	v_fmac_f32_e32 v133, 0xbe11bafb, v112
	v_mul_f32_e32 v109, 0x3f0a6770, v109
	v_add_f32_e32 v66, v69, v66
	v_add_f32_e32 v69, v103, v108
	v_sub_f32_e32 v103, v103, v108
	v_sub_f32_e32 v108, v135, v145
	v_add_f32_e32 v133, v133, v140
	v_fma_f32 v140, v112, s4, -v109
	v_fmac_f32_e32 v109, 0x3f575c64, v112
	v_mul_f32_e32 v112, 0xbf7d64f0, v108
	v_fmac_f32_e32 v142, 0xbe11bafb, v123
	v_fmac_f32_e32 v144, 0x3f575c64, v123
	v_fma_f32 v123, v69, s12, -v112
	v_add_f32_e32 v65, v109, v65
	v_add_f32_e32 v109, v135, v145
	v_add_f32_e32 v123, v123, v125
	v_mul_f32_e32 v125, 0xbf7d64f0, v103
	v_fmac_f32_e32 v112, 0xbe11bafb, v69
	v_add_f32_e32 v110, v112, v110
	v_fma_f32 v112, v109, s12, -v125
	v_add_f32_e32 v111, v112, v111
	v_mul_f32_e32 v112, 0x3e903f40, v108
	v_mov_b32_e32 v135, v125
	v_fma_f32 v125, v69, s14, -v112
	v_add_f32_e32 v125, v125, v127
	v_mul_f32_e32 v127, 0x3e903f40, v103
	v_fmac_f32_e32 v112, 0xbf75a155, v69
	v_add_f32_e32 v112, v112, v124
	v_fma_f32 v124, v109, s14, -v127
	v_fmac_f32_e32 v135, 0xbe11bafb, v109
	v_add_f32_e32 v124, v124, v126
	v_mul_f32_e32 v126, 0x3f68dda4, v108
	v_add_f32_e32 v128, v135, v128
	v_mov_b32_e32 v135, v127
	v_fma_f32 v127, v69, s5, -v126
	v_fmac_f32_e32 v135, 0xbf75a155, v109
	v_add_f32_e32 v127, v127, v130
	v_mul_f32_e32 v130, 0x3f68dda4, v103
	v_add_f32_e32 v131, v135, v131
	v_mov_b32_e32 v135, v130
	v_fmac_f32_e32 v126, 0x3ed4b147, v69
	v_fmac_f32_e32 v135, 0x3ed4b147, v109
	v_add_f32_e32 v126, v126, v129
	v_fma_f32 v129, v109, s5, -v130
	v_mul_f32_e32 v130, 0xbf0a6770, v108
	v_add_f32_e32 v134, v135, v134
	v_add_f32_e32 v129, v129, v132
	v_fma_f32 v132, v69, s4, -v130
	v_mul_f32_e32 v135, 0xbf0a6770, v103
	v_fmac_f32_e32 v130, 0x3f575c64, v69
	v_mul_f32_e32 v108, 0xbf4178ce, v108
	v_mul_f32_e32 v103, 0xbf4178ce, v103
	v_add_f32_e32 v132, v132, v136
	v_mov_b32_e32 v136, v135
	v_add_f32_e32 v130, v130, v133
	v_fma_f32 v133, v109, s4, -v135
	v_fma_f32 v135, v69, s13, -v108
	v_fmac_f32_e32 v108, 0xbf27a4f4, v69
	v_fma_f32 v69, v109, s13, -v103
	v_add_f32_e32 v66, v69, v66
	v_add_f32_e32 v69, v104, v107
	v_sub_f32_e32 v104, v104, v107
	v_sub_f32_e32 v107, v137, v143
	v_add_f32_e32 v133, v133, v138
	v_mov_b32_e32 v138, v103
	v_add_f32_e32 v65, v108, v65
	v_mul_f32_e32 v108, 0xbf4178ce, v107
	v_fmac_f32_e32 v136, 0x3f575c64, v109
	v_fmac_f32_e32 v138, 0xbf27a4f4, v109
	v_fma_f32 v109, v69, s13, -v108
	v_add_f32_e32 v103, v137, v143
	v_add_f32_e32 v109, v109, v123
	v_mul_f32_e32 v123, 0xbf4178ce, v104
	v_fmac_f32_e32 v108, 0xbf27a4f4, v69
	v_add_f32_e32 v108, v108, v110
	v_fma_f32 v110, v103, s13, -v123
	v_add_f32_e32 v110, v110, v111
	v_mul_f32_e32 v111, 0x3f7d64f0, v107
	v_mov_b32_e32 v137, v123
	v_fma_f32 v123, v69, s12, -v111
	v_add_f32_e32 v123, v123, v125
	v_mul_f32_e32 v125, 0x3f7d64f0, v104
	v_fmac_f32_e32 v111, 0xbe11bafb, v69
	v_add_f32_e32 v111, v111, v112
	v_fma_f32 v112, v103, s12, -v125
	v_fmac_f32_e32 v137, 0xbf27a4f4, v103
	v_add_f32_e32 v112, v112, v124
	v_mul_f32_e32 v124, 0xbf0a6770, v107
	v_add_f32_e32 v128, v137, v128
	v_mov_b32_e32 v137, v125
	v_fma_f32 v125, v69, s4, -v124
	v_fmac_f32_e32 v137, 0xbe11bafb, v103
	v_add_f32_e32 v125, v125, v127
	v_mul_f32_e32 v127, 0xbf0a6770, v104
	v_fmac_f32_e32 v124, 0x3f575c64, v69
	v_add_f32_e32 v131, v137, v131
	v_mov_b32_e32 v137, v127
	v_add_f32_e32 v124, v124, v126
	v_fma_f32 v126, v103, s4, -v127
	v_mul_f32_e32 v127, 0xbe903f40, v107
	v_add_f32_e32 v126, v126, v129
	v_fma_f32 v129, v69, s14, -v127
	v_add_f32_e32 v129, v129, v132
	v_mul_f32_e32 v132, 0xbe903f40, v104
	v_fmac_f32_e32 v127, 0xbf75a155, v69
	v_add_f32_e32 v127, v127, v130
	v_fma_f32 v130, v103, s14, -v132
	v_mul_f32_e32 v104, 0x3f68dda4, v104
	v_add_f32_e32 v144, v144, v149
	v_fmac_f32_e32 v137, 0x3f575c64, v103
	v_add_f32_e32 v130, v130, v133
	v_mov_b32_e32 v133, v104
	v_add_f32_e32 v142, v142, v146
	v_add_f32_e32 v138, v138, v144
	;; [unrolled: 1-line block ×3, first 2 shown]
	v_mov_b32_e32 v137, v132
	v_mul_f32_e32 v107, 0x3f68dda4, v107
	v_fmac_f32_e32 v133, 0x3ed4b147, v103
	v_add_f32_e32 v140, v140, v148
	v_add_f32_e32 v136, v136, v142
	v_fmac_f32_e32 v137, 0xbf75a155, v103
	v_fma_f32 v132, v69, s5, -v107
	v_add_f32_e32 v133, v133, v138
	v_fmac_f32_e32 v107, 0x3ed4b147, v69
	v_add_f32_e32 v138, v139, v141
	v_sub_f32_e32 v139, v139, v141
	v_add_f32_e32 v135, v135, v140
	v_add_f32_e32 v136, v137, v136
	;; [unrolled: 1-line block ×3, first 2 shown]
	v_fma_f32 v65, v103, s5, -v104
	v_add_f32_e32 v137, v105, v106
	v_mul_f32_e32 v103, 0xbe903f40, v139
	v_add_f32_e32 v132, v132, v135
	v_add_f32_e32 v135, v65, v66
	v_sub_f32_e32 v140, v105, v106
	v_fma_f32 v65, v137, s14, -v103
	v_fmac_f32_e32 v103, 0xbf75a155, v137
	v_add_f32_e32 v103, v103, v108
	v_mul_f32_e32 v107, 0x3f0a6770, v139
	v_mul_f32_e32 v108, 0x3f0a6770, v140
	;; [unrolled: 1-line block ×3, first 2 shown]
	v_fma_f32 v105, v137, s4, -v107
	v_mov_b32_e32 v106, v108
	v_fmac_f32_e32 v107, 0x3f575c64, v137
	v_fma_f32 v108, v138, s4, -v108
	v_mov_b32_e32 v66, v104
	v_fma_f32 v104, v138, s14, -v104
	v_add_f32_e32 v107, v107, v111
	v_add_f32_e32 v108, v108, v112
	v_mul_f32_e32 v111, 0xbf4178ce, v139
	v_mul_f32_e32 v112, 0xbf4178ce, v140
	v_add_f32_e32 v65, v65, v109
	v_add_f32_e32 v104, v104, v110
	v_fma_f32 v109, v137, s13, -v111
	v_mov_b32_e32 v110, v112
	v_fma_f32 v112, v138, s13, -v112
	v_add_f32_e32 v109, v109, v125
	v_fmac_f32_e32 v111, 0xbf27a4f4, v137
	v_add_f32_e32 v112, v112, v126
	v_mul_f32_e32 v125, 0x3f68dda4, v139
	v_mul_f32_e32 v126, 0x3f68dda4, v140
	v_add_f32_e32 v105, v105, v123
	v_add_f32_e32 v111, v111, v124
	v_fma_f32 v123, v137, s5, -v125
	v_mov_b32_e32 v124, v126
	v_fma_f32 v126, v138, s5, -v126
	v_fmac_f32_e32 v66, 0xbf75a155, v138
	v_add_f32_e32 v123, v123, v129
	v_fmac_f32_e32 v125, 0x3ed4b147, v137
	v_add_f32_e32 v126, v126, v130
	v_mul_f32_e32 v129, 0xbf7d64f0, v139
	v_mul_f32_e32 v130, 0xbf7d64f0, v140
	v_add_f32_e32 v66, v66, v128
	v_add_f32_e32 v125, v125, v127
	v_fma_f32 v127, v137, s12, -v129
	v_mov_b32_e32 v128, v130
	v_fmac_f32_e32 v129, 0xbe11bafb, v137
	v_fmac_f32_e32 v106, 0x3f575c64, v138
	;; [unrolled: 1-line block ×5, first 2 shown]
	v_add_f32_e32 v129, v129, v69
	v_fma_f32 v69, v138, s12, -v130
	v_add_f32_e32 v106, v106, v131
	v_add_f32_e32 v110, v110, v134
	v_add_f32_e32 v124, v124, v136
	v_add_f32_e32 v127, v127, v132
	v_add_f32_e32 v128, v128, v133
	v_add_f32_e32 v130, v69, v135
	ds_write2_b64 v113, v[67:68], v[65:66] offset1:165
	ds_write2_b64 v63, v[105:106], v[109:110] offset0:74 offset1:239
	ds_write2_b64 v62, v[123:124], v[127:128] offset0:20 offset1:185
	;; [unrolled: 1-line block ×4, first 2 shown]
	ds_write_b64 v113, v[103:104] offset:13200
	v_add_co_u32_e64 v65, s[2:3], s2, v70
	v_addc_co_u32_e64 v66, s[2:3], 0, v64, s[2:3]
	s_waitcnt lgkmcnt(0)
	s_barrier
	global_load_dwordx2 v[68:69], v[65:66], off offset:2232
	v_add_co_u32_e64 v65, s[2:3], s15, v70
	v_addc_co_u32_e64 v66, s[2:3], 0, v64, s[2:3]
	global_load_dwordx2 v[103:104], v[65:66], off offset:1320
	global_load_dwordx2 v[105:106], v[65:66], off offset:2640
	;; [unrolled: 1-line block ×3, first 2 shown]
	s_movk_i32 s2, 0x4000
	v_add_co_u32_e64 v65, s[2:3], s2, v70
	v_addc_co_u32_e64 v66, s[2:3], 0, v64, s[2:3]
	global_load_dwordx2 v[109:110], v[65:66], off offset:3416
	s_movk_i32 s2, 0x5000
	v_add_co_u32_e64 v65, s[2:3], s2, v70
	v_addc_co_u32_e64 v66, s[2:3], 0, v64, s[2:3]
	global_load_dwordx2 v[111:112], v[65:66], off offset:640
	global_load_dwordx2 v[123:124], v[65:66], off offset:1960
	;; [unrolled: 1-line block ×3, first 2 shown]
	s_movk_i32 s2, 0x6000
	v_add_co_u32_e64 v65, s[2:3], s2, v70
	v_addc_co_u32_e64 v66, s[2:3], 0, v64, s[2:3]
	global_load_dwordx2 v[127:128], v[65:66], off offset:504
	global_load_dwordx2 v[129:130], v[65:66], off offset:1824
	global_load_dwordx2 v[131:132], v[65:66], off offset:3144
	ds_read2_b64 v[64:67], v113 offset1:165
	s_waitcnt vmcnt(10) lgkmcnt(0)
	v_mul_f32_e32 v70, v65, v69
	v_mul_f32_e32 v134, v64, v69
	v_fma_f32 v133, v64, v68, -v70
	v_fmac_f32_e32 v134, v65, v68
	s_waitcnt vmcnt(9)
	v_mul_f32_e32 v64, v67, v104
	v_mul_f32_e32 v65, v66, v104
	v_fma_f32 v64, v66, v103, -v64
	v_fmac_f32_e32 v65, v67, v103
	ds_write2_b64 v113, v[133:134], v[64:65] offset1:165
	ds_read2_b64 v[64:67], v63 offset0:74 offset1:239
	s_waitcnt vmcnt(8) lgkmcnt(0)
	v_mul_f32_e32 v68, v65, v106
	v_mul_f32_e32 v69, v64, v106
	v_fma_f32 v68, v64, v105, -v68
	v_fmac_f32_e32 v69, v65, v105
	ds_read2_b64 v[103:106], v62 offset0:20 offset1:185
	s_waitcnt vmcnt(7)
	v_mul_f32_e32 v64, v67, v108
	v_mul_f32_e32 v65, v66, v108
	v_fma_f32 v64, v66, v107, -v64
	v_fmac_f32_e32 v65, v67, v107
	ds_write2_b64 v63, v[68:69], v[64:65] offset0:74 offset1:239
	s_waitcnt vmcnt(6) lgkmcnt(1)
	v_mul_f32_e32 v64, v104, v110
	v_fma_f32 v68, v103, v109, -v64
	ds_read2_b64 v[64:67], v61 offset0:30 offset1:195
	v_mul_f32_e32 v69, v103, v110
	v_fmac_f32_e32 v69, v104, v109
	s_waitcnt vmcnt(5)
	v_mul_f32_e32 v70, v106, v112
	v_mul_f32_e32 v104, v105, v112
	v_fma_f32 v103, v105, v111, -v70
	v_fmac_f32_e32 v104, v106, v111
	ds_write2_b64 v62, v[68:69], v[103:104] offset0:20 offset1:185
	s_waitcnt vmcnt(4) lgkmcnt(1)
	v_mul_f32_e32 v68, v65, v124
	v_mul_f32_e32 v69, v64, v124
	ds_read2_b64 v[103:106], v60 offset0:40 offset1:205
	v_fma_f32 v68, v64, v123, -v68
	v_fmac_f32_e32 v69, v65, v123
	s_waitcnt vmcnt(3)
	v_mul_f32_e32 v64, v67, v126
	v_mul_f32_e32 v65, v66, v126
	v_fma_f32 v64, v66, v125, -v64
	v_fmac_f32_e32 v65, v67, v125
	ds_read_b64 v[66:67], v113 offset:13200
	ds_write2_b64 v61, v[68:69], v[64:65] offset0:30 offset1:195
	s_waitcnt vmcnt(2) lgkmcnt(2)
	v_mul_f32_e32 v64, v104, v128
	v_mul_f32_e32 v65, v103, v128
	s_waitcnt vmcnt(1)
	v_mul_f32_e32 v68, v106, v130
	v_mul_f32_e32 v69, v105, v130
	v_fma_f32 v64, v103, v127, -v64
	v_fmac_f32_e32 v65, v104, v127
	v_fma_f32 v68, v105, v129, -v68
	v_fmac_f32_e32 v69, v106, v129
	ds_write2_b64 v60, v[64:65], v[68:69] offset0:40 offset1:205
	s_waitcnt vmcnt(0) lgkmcnt(2)
	v_mul_f32_e32 v64, v67, v132
	v_mul_f32_e32 v65, v66, v132
	v_fma_f32 v64, v66, v131, -v64
	v_fmac_f32_e32 v65, v67, v131
	ds_write_b64 v113, v[64:65] offset:13200
	s_waitcnt lgkmcnt(0)
	s_barrier
	ds_read2_b64 v[64:67], v113 offset1:165
	ds_read2_b64 v[103:106], v63 offset0:74 offset1:239
	ds_read2_b64 v[107:110], v62 offset0:20 offset1:185
	;; [unrolled: 1-line block ×4, first 2 shown]
	ds_read_b64 v[68:69], v113 offset:13200
	s_waitcnt lgkmcnt(5)
	v_add_f32_e32 v70, v64, v66
	v_add_f32_e32 v111, v65, v67
	s_waitcnt lgkmcnt(4)
	v_add_f32_e32 v70, v70, v103
	v_add_f32_e32 v111, v111, v104
	v_add_f32_e32 v70, v70, v105
	v_add_f32_e32 v111, v111, v106
	s_waitcnt lgkmcnt(3)
	v_add_f32_e32 v70, v70, v107
	v_add_f32_e32 v111, v111, v108
	;; [unrolled: 5-line block ×4, first 2 shown]
	v_add_f32_e32 v70, v70, v62
	s_waitcnt lgkmcnt(0)
	v_add_f32_e32 v127, v69, v67
	v_sub_f32_e32 v67, v67, v69
	v_add_f32_e32 v112, v111, v63
	v_add_f32_e32 v111, v70, v68
	;; [unrolled: 1-line block ×3, first 2 shown]
	v_sub_f32_e32 v66, v66, v68
	v_mul_f32_e32 v68, 0xbf0a6770, v67
	v_mul_f32_e32 v130, 0xbf68dda4, v67
	;; [unrolled: 1-line block ×5, first 2 shown]
	v_add_f32_e32 v112, v112, v69
	v_mov_b32_e32 v69, v68
	v_mov_b32_e32 v131, v130
	;; [unrolled: 1-line block ×5, first 2 shown]
	v_fmac_f32_e32 v69, 0x3f575c64, v70
	v_fma_f32 v68, v70, s4, -v68
	v_fmac_f32_e32 v131, 0x3ed4b147, v70
	v_fma_f32 v130, v70, s5, -v130
	;; [unrolled: 2-line block ×5, first 2 shown]
	v_add_f32_e32 v69, v64, v69
	v_mul_f32_e32 v128, 0x3f575c64, v127
	v_add_f32_e32 v68, v64, v68
	v_add_f32_e32 v131, v64, v131
	v_mul_f32_e32 v132, 0x3ed4b147, v127
	v_add_f32_e32 v130, v64, v130
	;; [unrolled: 3-line block ×5, first 2 shown]
	v_add_f32_e32 v67, v63, v104
	v_sub_f32_e32 v63, v104, v63
	v_mov_b32_e32 v129, v128
	v_mov_b32_e32 v133, v132
	;; [unrolled: 1-line block ×5, first 2 shown]
	v_mul_f32_e32 v70, 0xbf68dda4, v63
	v_fmac_f32_e32 v129, 0x3f0a6770, v66
	v_fmac_f32_e32 v128, 0xbf0a6770, v66
	;; [unrolled: 1-line block ×10, first 2 shown]
	v_add_f32_e32 v66, v62, v103
	v_sub_f32_e32 v62, v103, v62
	v_mov_b32_e32 v103, v70
	v_fmac_f32_e32 v103, 0x3ed4b147, v66
	v_add_f32_e32 v69, v103, v69
	v_mul_f32_e32 v103, 0x3ed4b147, v67
	v_add_f32_e32 v128, v65, v128
	v_mov_b32_e32 v104, v103
	v_fma_f32 v70, v66, s5, -v70
	v_fmac_f32_e32 v103, 0xbf68dda4, v62
	v_add_f32_e32 v68, v70, v68
	v_add_f32_e32 v70, v103, v128
	v_mul_f32_e32 v103, 0xbf4178ce, v63
	v_add_f32_e32 v129, v65, v129
	v_add_f32_e32 v133, v65, v133
	;; [unrolled: 1-line block ×9, first 2 shown]
	v_mov_b32_e32 v127, v103
	v_fma_f32 v103, v66, s13, -v103
	v_fmac_f32_e32 v104, 0x3f68dda4, v62
	v_fmac_f32_e32 v127, 0xbf27a4f4, v66
	v_mul_f32_e32 v128, 0xbf27a4f4, v67
	v_add_f32_e32 v103, v103, v130
	v_mul_f32_e32 v130, 0x3e903f40, v63
	v_add_f32_e32 v104, v104, v129
	v_add_f32_e32 v127, v127, v131
	v_mov_b32_e32 v129, v128
	v_fmac_f32_e32 v128, 0xbf4178ce, v62
	v_mov_b32_e32 v131, v130
	v_fma_f32 v130, v66, s14, -v130
	v_fmac_f32_e32 v129, 0x3f4178ce, v62
	v_add_f32_e32 v128, v128, v132
	v_fmac_f32_e32 v131, 0xbf75a155, v66
	v_mul_f32_e32 v132, 0xbf75a155, v67
	v_add_f32_e32 v130, v130, v134
	v_mul_f32_e32 v134, 0x3f7d64f0, v63
	v_add_f32_e32 v129, v129, v133
	v_add_f32_e32 v131, v131, v135
	v_mov_b32_e32 v133, v132
	v_fmac_f32_e32 v132, 0x3e903f40, v62
	v_mov_b32_e32 v135, v134
	v_fmac_f32_e32 v133, 0xbe903f40, v62
	v_add_f32_e32 v132, v132, v136
	v_fmac_f32_e32 v135, 0xbe11bafb, v66
	v_mul_f32_e32 v136, 0xbe11bafb, v67
	v_mul_f32_e32 v67, 0x3f575c64, v67
	v_add_f32_e32 v133, v133, v137
	v_add_f32_e32 v135, v135, v139
	v_mov_b32_e32 v137, v136
	v_fma_f32 v134, v66, s12, -v134
	v_mul_f32_e32 v63, 0x3f0a6770, v63
	v_mov_b32_e32 v139, v67
	v_fmac_f32_e32 v67, 0x3f0a6770, v62
	v_fmac_f32_e32 v137, 0xbf7d64f0, v62
	v_add_f32_e32 v134, v134, v138
	v_fmac_f32_e32 v136, 0x3f7d64f0, v62
	v_mov_b32_e32 v138, v63
	v_fmac_f32_e32 v139, 0xbf0a6770, v62
	v_add_f32_e32 v62, v67, v65
	v_add_f32_e32 v65, v61, v106
	v_sub_f32_e32 v61, v106, v61
	v_fmac_f32_e32 v138, 0x3f575c64, v66
	v_fma_f32 v63, v66, s4, -v63
	v_mul_f32_e32 v66, 0xbf7d64f0, v61
	v_add_f32_e32 v63, v63, v64
	v_add_f32_e32 v64, v60, v105
	v_mov_b32_e32 v67, v66
	v_fmac_f32_e32 v67, 0xbe11bafb, v64
	v_add_f32_e32 v67, v67, v69
	v_mul_f32_e32 v69, 0xbe11bafb, v65
	v_sub_f32_e32 v60, v105, v60
	v_mov_b32_e32 v105, v69
	v_fmac_f32_e32 v105, 0x3f7d64f0, v60
	v_fma_f32 v66, v64, s12, -v66
	v_fmac_f32_e32 v69, 0xbf7d64f0, v60
	v_add_f32_e32 v104, v105, v104
	v_add_f32_e32 v66, v66, v68
	;; [unrolled: 1-line block ×3, first 2 shown]
	v_mul_f32_e32 v69, 0x3e903f40, v61
	v_mul_f32_e32 v105, 0xbf75a155, v65
	v_mov_b32_e32 v70, v69
	v_mov_b32_e32 v106, v105
	v_fma_f32 v69, v64, s14, -v69
	v_fmac_f32_e32 v105, 0x3e903f40, v60
	v_fmac_f32_e32 v70, 0xbf75a155, v64
	v_add_f32_e32 v69, v69, v103
	v_add_f32_e32 v103, v105, v128
	v_mul_f32_e32 v105, 0x3f68dda4, v61
	v_add_f32_e32 v70, v70, v127
	v_mov_b32_e32 v127, v105
	v_fma_f32 v105, v64, s5, -v105
	v_fmac_f32_e32 v106, 0xbe903f40, v60
	v_fmac_f32_e32 v127, 0x3ed4b147, v64
	v_mul_f32_e32 v128, 0x3ed4b147, v65
	v_add_f32_e32 v105, v105, v130
	v_mul_f32_e32 v130, 0xbf0a6770, v61
	v_add_f32_e32 v106, v106, v129
	v_add_f32_e32 v127, v127, v131
	v_mov_b32_e32 v129, v128
	v_fmac_f32_e32 v128, 0x3f68dda4, v60
	v_mov_b32_e32 v131, v130
	v_fmac_f32_e32 v129, 0xbf68dda4, v60
	v_add_f32_e32 v128, v128, v132
	v_fmac_f32_e32 v131, 0x3f575c64, v64
	v_mul_f32_e32 v132, 0x3f575c64, v65
	v_mul_f32_e32 v65, 0xbf27a4f4, v65
	v_add_f32_e32 v129, v129, v133
	v_add_f32_e32 v131, v131, v135
	v_mov_b32_e32 v133, v132
	v_fma_f32 v130, v64, s4, -v130
	v_mul_f32_e32 v61, 0xbf4178ce, v61
	v_mov_b32_e32 v135, v65
	v_fmac_f32_e32 v65, 0xbf4178ce, v60
	v_fmac_f32_e32 v133, 0x3f0a6770, v60
	v_add_f32_e32 v130, v130, v134
	v_fmac_f32_e32 v132, 0xbf0a6770, v60
	v_mov_b32_e32 v134, v61
	v_fmac_f32_e32 v135, 0x3f4178ce, v60
	v_add_f32_e32 v60, v65, v62
	v_sub_f32_e32 v65, v108, v126
	v_fmac_f32_e32 v134, 0xbf27a4f4, v64
	v_fma_f32 v61, v64, s13, -v61
	v_add_f32_e32 v62, v125, v107
	v_sub_f32_e32 v64, v107, v125
	v_mul_f32_e32 v107, 0xbf4178ce, v65
	v_add_f32_e32 v61, v61, v63
	v_add_f32_e32 v63, v126, v108
	v_mov_b32_e32 v108, v107
	v_fmac_f32_e32 v108, 0xbf27a4f4, v62
	v_add_f32_e32 v67, v108, v67
	v_mul_f32_e32 v108, 0xbf27a4f4, v63
	v_fma_f32 v107, v62, s13, -v107
	v_mov_b32_e32 v125, v108
	v_add_f32_e32 v66, v107, v66
	v_fmac_f32_e32 v108, 0xbf4178ce, v64
	v_mul_f32_e32 v107, 0x3f7d64f0, v65
	v_add_f32_e32 v68, v108, v68
	v_mov_b32_e32 v108, v107
	v_fmac_f32_e32 v108, 0xbe11bafb, v62
	v_fmac_f32_e32 v125, 0x3f4178ce, v64
	v_add_f32_e32 v70, v108, v70
	v_mul_f32_e32 v108, 0xbe11bafb, v63
	v_add_f32_e32 v104, v125, v104
	v_mov_b32_e32 v125, v108
	v_fmac_f32_e32 v125, 0xbf7d64f0, v64
	v_fmac_f32_e32 v108, 0x3f7d64f0, v64
	v_add_f32_e32 v106, v125, v106
	v_fma_f32 v107, v62, s12, -v107
	v_add_f32_e32 v125, v108, v103
	v_mul_f32_e32 v103, 0xbf0a6770, v65
	v_add_f32_e32 v69, v107, v69
	v_mov_b32_e32 v107, v103
	v_fmac_f32_e32 v107, 0x3f575c64, v62
	v_add_f32_e32 v126, v107, v127
	v_mul_f32_e32 v107, 0x3f575c64, v63
	v_fma_f32 v103, v62, s4, -v103
	v_mov_b32_e32 v108, v107
	v_add_f32_e32 v105, v103, v105
	v_fmac_f32_e32 v107, 0xbf0a6770, v64
	v_mul_f32_e32 v103, 0xbe903f40, v65
	v_add_f32_e32 v128, v107, v128
	v_mov_b32_e32 v107, v103
	v_fmac_f32_e32 v108, 0x3f0a6770, v64
	v_fmac_f32_e32 v107, 0xbf75a155, v62
	v_add_f32_e32 v127, v108, v129
	v_add_f32_e32 v129, v107, v131
	v_mul_f32_e32 v107, 0xbf75a155, v63
	v_fma_f32 v103, v62, s14, -v103
	v_mul_f32_e32 v65, 0x3f68dda4, v65
	v_add_f32_e32 v137, v137, v141
	v_add_f32_e32 v138, v138, v142
	v_mov_b32_e32 v108, v107
	v_add_f32_e32 v130, v103, v130
	v_mov_b32_e32 v103, v65
	v_add_f32_e32 v133, v133, v137
	v_add_f32_e32 v134, v134, v138
	v_fmac_f32_e32 v108, 0x3e903f40, v64
	v_fmac_f32_e32 v103, 0x3ed4b147, v62
	v_mul_f32_e32 v63, 0x3ed4b147, v63
	v_add_f32_e32 v139, v139, v143
	v_add_f32_e32 v131, v108, v133
	;; [unrolled: 1-line block ×3, first 2 shown]
	v_mov_b32_e32 v103, v63
	v_add_f32_e32 v135, v135, v139
	v_fmac_f32_e32 v103, 0xbf68dda4, v64
	v_fma_f32 v62, v62, s5, -v65
	v_add_f32_e32 v137, v123, v109
	v_sub_f32_e32 v139, v109, v123
	v_sub_f32_e32 v109, v110, v124
	v_add_f32_e32 v136, v136, v140
	v_add_f32_e32 v134, v103, v135
	;; [unrolled: 1-line block ×3, first 2 shown]
	v_fmac_f32_e32 v63, 0x3f68dda4, v64
	v_mul_f32_e32 v62, 0xbe903f40, v109
	v_add_f32_e32 v132, v132, v136
	v_fmac_f32_e32 v107, 0xbe903f40, v64
	v_add_f32_e32 v136, v63, v60
	v_add_f32_e32 v138, v124, v110
	v_mov_b32_e32 v60, v62
	v_fma_f32 v62, v137, s14, -v62
	v_mul_f32_e32 v64, 0x3f0a6770, v109
	v_add_f32_e32 v132, v107, v132
	v_mul_f32_e32 v63, 0xbf75a155, v138
	v_add_f32_e32 v107, v62, v66
	v_mov_b32_e32 v62, v64
	v_mov_b32_e32 v61, v63
	v_fmac_f32_e32 v63, 0xbe903f40, v139
	v_fmac_f32_e32 v62, 0x3f575c64, v137
	v_mul_f32_e32 v65, 0x3f575c64, v138
	v_add_f32_e32 v108, v63, v68
	v_add_f32_e32 v62, v62, v70
	v_mov_b32_e32 v63, v65
	v_fma_f32 v64, v137, s4, -v64
	v_mul_f32_e32 v66, 0xbf4178ce, v109
	v_mul_f32_e32 v70, 0x3f68dda4, v109
	v_fmac_f32_e32 v60, 0xbf75a155, v137
	v_fmac_f32_e32 v63, 0xbf0a6770, v139
	v_add_f32_e32 v103, v64, v69
	v_mov_b32_e32 v64, v66
	v_fma_f32 v66, v137, s13, -v66
	v_mov_b32_e32 v68, v70
	v_fma_f32 v70, v137, s5, -v70
	v_add_f32_e32 v60, v60, v67
	v_fmac_f32_e32 v61, 0x3e903f40, v139
	v_add_f32_e32 v63, v63, v106
	v_fmac_f32_e32 v65, 0x3f0a6770, v139
	v_mul_f32_e32 v67, 0xbf27a4f4, v138
	v_add_f32_e32 v66, v66, v105
	v_mul_f32_e32 v106, 0x3ed4b147, v138
	v_add_f32_e32 v105, v70, v130
	v_mul_f32_e32 v70, 0xbf7d64f0, v109
	v_mul_f32_e32 v124, 0xbe11bafb, v138
	v_add_f32_e32 v61, v61, v104
	v_add_f32_e32 v104, v65, v125
	v_fmac_f32_e32 v64, 0xbf27a4f4, v137
	v_mov_b32_e32 v65, v67
	v_mov_b32_e32 v69, v106
	;; [unrolled: 1-line block ×4, first 2 shown]
	v_add_f32_e32 v64, v64, v126
	v_fmac_f32_e32 v65, 0x3f4178ce, v139
	v_fmac_f32_e32 v67, 0xbf4178ce, v139
	;; [unrolled: 1-line block ×7, first 2 shown]
	v_fma_f32 v70, v137, s12, -v70
	v_fmac_f32_e32 v124, 0xbf7d64f0, v139
	v_add_f32_e32 v65, v65, v127
	v_add_f32_e32 v67, v67, v128
	;; [unrolled: 1-line block ×9, first 2 shown]
	s_barrier
	ds_write2_b64 v71, v[111:112], v[60:61] offset1:1
	ds_write2_b64 v71, v[62:63], v[64:65] offset0:2 offset1:3
	ds_write2_b64 v71, v[68:69], v[109:110] offset0:4 offset1:5
	;; [unrolled: 1-line block ×4, first 2 shown]
	ds_write_b64 v71, v[107:108] offset:80
	v_add_u32_e32 v64, 0x1200, v113
	s_waitcnt lgkmcnt(0)
	s_barrier
	ds_read2_b64 v[68:71], v64 offset0:29 offset1:194
	v_add_u32_e32 v64, 0x2400, v113
	ds_read2_b64 v[60:63], v113 offset1:165
	ds_read2_b64 v[64:67], v64 offset0:58 offset1:223
	ds_read_b64 v[105:106], v113 offset:2640
	ds_read_b64 v[111:112], v113 offset:7480
	;; [unrolled: 1-line block ×3, first 2 shown]
	s_and_saveexec_b64 s[2:3], s[0:1]
	s_cbranch_execz .LBB0_11
; %bb.10:
	ds_read_b64 v[103:104], v113 offset:3960
	ds_read_b64 v[107:108], v113 offset:8800
	;; [unrolled: 1-line block ×3, first 2 shown]
.LBB0_11:
	s_or_b64 exec, exec, s[2:3]
	s_waitcnt lgkmcnt(5)
	v_mul_f32_e32 v123, v9, v69
	v_mul_f32_e32 v9, v9, v68
	v_fmac_f32_e32 v123, v8, v68
	v_fma_f32 v68, v8, v69, -v9
	s_waitcnt lgkmcnt(3)
	v_mul_f32_e32 v69, v11, v65
	v_mul_f32_e32 v8, v11, v64
	v_fmac_f32_e32 v69, v10, v64
	v_fma_f32 v64, v10, v65, -v8
	v_mul_f32_e32 v65, v13, v71
	v_mul_f32_e32 v8, v13, v70
	v_fmac_f32_e32 v65, v12, v70
	v_fma_f32 v70, v12, v71, -v8
	;; [unrolled: 4-line block ×3, first 2 shown]
	s_waitcnt lgkmcnt(1)
	v_mul_f32_e32 v67, v17, v112
	v_mul_f32_e32 v8, v17, v111
	v_add_f32_e32 v15, v68, v64
	v_fmac_f32_e32 v67, v16, v111
	v_fma_f32 v111, v16, v112, -v8
	s_waitcnt lgkmcnt(0)
	v_mul_f32_e32 v112, v19, v110
	v_mul_f32_e32 v8, v19, v109
	v_fma_f32 v15, -0.5, v15, v61
	v_fmac_f32_e32 v112, v18, v109
	v_fma_f32 v109, v18, v110, -v8
	v_sub_f32_e32 v18, v123, v69
	v_mov_b32_e32 v17, v15
	v_add_f32_e32 v19, v65, v71
	v_mul_f32_e32 v8, v21, v108
	v_mul_f32_e32 v9, v21, v107
	v_fmac_f32_e32 v17, 0x3f5db3d7, v18
	v_fmac_f32_e32 v15, 0xbf5db3d7, v18
	v_add_f32_e32 v18, v62, v65
	v_fma_f32 v62, -0.5, v19, v62
	v_fmac_f32_e32 v8, v20, v107
	v_fma_f32 v10, v20, v108, -v9
	v_sub_f32_e32 v19, v70, v66
	v_mov_b32_e32 v20, v62
	v_add_f32_e32 v21, v70, v66
	v_mul_f32_e32 v9, v23, v102
	v_mul_f32_e32 v11, v23, v101
	v_add_f32_e32 v13, v123, v69
	v_fmac_f32_e32 v20, 0xbf5db3d7, v19
	v_fmac_f32_e32 v62, 0x3f5db3d7, v19
	v_add_f32_e32 v19, v63, v70
	v_fmac_f32_e32 v63, -0.5, v21
	v_fmac_f32_e32 v9, v22, v101
	v_fma_f32 v11, v22, v102, -v11
	v_fma_f32 v14, -0.5, v13, v60
	v_sub_f32_e32 v22, v65, v71
	v_mov_b32_e32 v21, v63
	v_add_f32_e32 v23, v67, v112
	v_sub_f32_e32 v13, v68, v64
	v_mov_b32_e32 v16, v14
	v_fmac_f32_e32 v21, 0x3f5db3d7, v22
	v_fmac_f32_e32 v63, 0xbf5db3d7, v22
	v_add_f32_e32 v22, v105, v67
	v_fma_f32 v105, -0.5, v23, v105
	v_add_f32_e32 v12, v60, v123
	v_fmac_f32_e32 v16, 0xbf5db3d7, v13
	v_fmac_f32_e32 v14, 0x3f5db3d7, v13
	v_add_f32_e32 v13, v61, v68
	v_sub_f32_e32 v23, v111, v109
	v_mov_b32_e32 v60, v105
	v_add_f32_e32 v61, v111, v109
	v_fmac_f32_e32 v60, 0xbf5db3d7, v23
	v_fmac_f32_e32 v105, 0x3f5db3d7, v23
	v_add_f32_e32 v23, v106, v111
	v_fmac_f32_e32 v106, -0.5, v61
	v_add_f32_e32 v13, v13, v64
	v_sub_f32_e32 v64, v67, v112
	v_mov_b32_e32 v61, v106
	v_fmac_f32_e32 v61, 0x3f5db3d7, v64
	v_fmac_f32_e32 v106, 0xbf5db3d7, v64
	v_add_f32_e32 v64, v8, v9
	v_add_f32_e32 v19, v19, v66
	v_fma_f32 v66, -0.5, v64, v103
	v_sub_f32_e32 v65, v10, v11
	v_mov_b32_e32 v64, v66
	v_fmac_f32_e32 v64, 0xbf5db3d7, v65
	v_fmac_f32_e32 v66, 0x3f5db3d7, v65
	v_add_f32_e32 v65, v10, v11
	v_fma_f32 v67, -0.5, v65, v104
	v_sub_f32_e32 v68, v8, v9
	v_mov_b32_e32 v65, v67
	v_add_f32_e32 v12, v12, v69
	v_fmac_f32_e32 v65, 0x3f5db3d7, v68
	v_fmac_f32_e32 v67, 0xbf5db3d7, v68
	v_add_f32_e32 v18, v18, v71
	v_add_f32_e32 v22, v22, v112
	;; [unrolled: 1-line block ×3, first 2 shown]
	s_barrier
	ds_write2_b64 v117, v[12:13], v[16:17] offset1:11
	ds_write_b64 v117, v[14:15] offset:176
	ds_write2_b64 v118, v[18:19], v[20:21] offset1:11
	ds_write_b64 v118, v[62:63] offset:176
	;; [unrolled: 2-line block ×3, first 2 shown]
	s_and_saveexec_b64 s[2:3], s[0:1]
	s_cbranch_execz .LBB0_13
; %bb.12:
	v_add_f32_e32 v8, v103, v8
	v_add_f32_e32 v10, v104, v10
	;; [unrolled: 1-line block ×3, first 2 shown]
	v_mad_legacy_u16 v8, v115, 33, v116
	v_add_f32_e32 v10, v10, v11
	v_lshlrev_b32_e32 v8, 3, v8
	ds_write2_b64 v8, v[9:10], v[64:65] offset1:11
	ds_write_b64 v8, v[66:67] offset:176
.LBB0_13:
	s_or_b64 exec, exec, s[2:3]
	v_add_u32_e32 v12, 0xa00, v113
	s_waitcnt lgkmcnt(0)
	s_barrier
	ds_read2_b64 v[60:63], v12 offset0:43 offset1:208
	v_add_u32_e32 v12, 0x1400, v113
	ds_read2_b64 v[20:23], v12 offset0:86 offset1:251
	v_add_u32_e32 v12, 0x2000, v113
	;; [unrolled: 2-line block ×3, first 2 shown]
	ds_read2_b64 v[8:11], v113 offset1:165
	ds_read2_b64 v[12:15], v12 offset0:44 offset1:209
	s_and_saveexec_b64 s[0:1], vcc
	s_cbranch_execz .LBB0_15
; %bb.14:
	ds_read_b64 v[64:65], v113 offset:2640
	ds_read_b64 v[66:67], v113 offset:5544
	;; [unrolled: 1-line block ×5, first 2 shown]
.LBB0_15:
	s_or_b64 exec, exec, s[0:1]
	s_waitcnt lgkmcnt(4)
	v_mul_f32_e32 v68, v37, v61
	v_mul_f32_e32 v37, v37, v60
	v_fmac_f32_e32 v68, v36, v60
	v_fma_f32 v36, v36, v61, -v37
	s_waitcnt lgkmcnt(3)
	v_mul_f32_e32 v37, v39, v21
	v_fmac_f32_e32 v37, v38, v20
	v_mul_f32_e32 v20, v39, v20
	v_fma_f32 v20, v38, v21, -v20
	s_waitcnt lgkmcnt(2)
	v_mul_f32_e32 v21, v29, v17
	v_fmac_f32_e32 v21, v28, v16
	v_mul_f32_e32 v16, v29, v16
	;; [unrolled: 5-line block ×3, first 2 shown]
	v_fma_f32 v29, v30, v13, -v12
	v_mul_f32_e32 v30, v33, v63
	v_mul_f32_e32 v12, v33, v62
	v_fmac_f32_e32 v30, v32, v62
	v_fma_f32 v31, v32, v63, -v12
	v_mul_f32_e32 v32, v35, v23
	v_mul_f32_e32 v12, v35, v22
	v_fmac_f32_e32 v32, v34, v22
	v_fma_f32 v33, v34, v23, -v12
	v_mul_f32_e32 v34, v25, v19
	v_mul_f32_e32 v12, v25, v18
	;; [unrolled: 1-line block ×3, first 2 shown]
	v_add_f32_e32 v13, v37, v21
	v_fma_f32 v35, v24, v19, -v12
	v_fmac_f32_e32 v25, v26, v14
	v_mul_f32_e32 v12, v27, v14
	v_fma_f32 v14, -0.5, v13, v8
	v_sub_f32_e32 v13, v36, v29
	v_mov_b32_e32 v16, v14
	v_fmac_f32_e32 v34, v24, v18
	v_fma_f32 v38, v26, v15, -v12
	v_fmac_f32_e32 v16, 0xbf737871, v13
	v_sub_f32_e32 v15, v20, v28
	v_sub_f32_e32 v18, v68, v37
	;; [unrolled: 1-line block ×3, first 2 shown]
	v_fmac_f32_e32 v14, 0x3f737871, v13
	v_fmac_f32_e32 v16, 0xbf167918, v15
	v_add_f32_e32 v18, v18, v19
	v_fmac_f32_e32 v14, 0x3f167918, v15
	v_fmac_f32_e32 v16, 0x3e9e377a, v18
	;; [unrolled: 1-line block ×3, first 2 shown]
	v_add_f32_e32 v18, v68, v17
	v_add_f32_e32 v12, v8, v68
	v_fma_f32 v8, -0.5, v18, v8
	v_mov_b32_e32 v18, v8
	v_add_f32_e32 v12, v12, v37
	v_fmac_f32_e32 v18, 0x3f737871, v15
	v_fmac_f32_e32 v8, 0xbf737871, v15
	v_add_f32_e32 v15, v20, v28
	v_add_f32_e32 v12, v12, v21
	v_sub_f32_e32 v19, v37, v68
	v_sub_f32_e32 v22, v21, v17
	v_fma_f32 v15, -0.5, v15, v9
	v_add_f32_e32 v12, v12, v17
	v_fmac_f32_e32 v18, 0xbf167918, v13
	v_add_f32_e32 v19, v19, v22
	v_fmac_f32_e32 v8, 0x3f167918, v13
	v_sub_f32_e32 v22, v68, v17
	v_mov_b32_e32 v17, v15
	v_fmac_f32_e32 v18, 0x3e9e377a, v19
	v_fmac_f32_e32 v8, 0x3e9e377a, v19
	;; [unrolled: 1-line block ×3, first 2 shown]
	v_sub_f32_e32 v21, v37, v21
	v_sub_f32_e32 v19, v36, v20
	v_sub_f32_e32 v23, v29, v28
	v_fmac_f32_e32 v15, 0xbf737871, v22
	v_fmac_f32_e32 v17, 0x3f167918, v21
	v_add_f32_e32 v19, v19, v23
	v_fmac_f32_e32 v15, 0xbf167918, v21
	v_fmac_f32_e32 v17, 0x3e9e377a, v19
	;; [unrolled: 1-line block ×3, first 2 shown]
	v_add_f32_e32 v19, v36, v29
	v_add_f32_e32 v13, v9, v36
	v_fma_f32 v9, -0.5, v19, v9
	v_mov_b32_e32 v19, v9
	v_fmac_f32_e32 v19, 0xbf737871, v21
	v_fmac_f32_e32 v9, 0x3f737871, v21
	v_add_f32_e32 v21, v32, v34
	v_fmac_f32_e32 v19, 0x3f167918, v22
	v_fmac_f32_e32 v9, 0xbf167918, v22
	v_fma_f32 v22, -0.5, v21, v10
	v_add_f32_e32 v13, v13, v20
	v_sub_f32_e32 v20, v20, v36
	v_sub_f32_e32 v23, v28, v29
	;; [unrolled: 1-line block ×3, first 2 shown]
	v_mov_b32_e32 v24, v22
	v_add_f32_e32 v20, v20, v23
	v_fmac_f32_e32 v24, 0xbf737871, v21
	v_sub_f32_e32 v23, v33, v35
	v_sub_f32_e32 v26, v30, v32
	;; [unrolled: 1-line block ×3, first 2 shown]
	v_fmac_f32_e32 v22, 0x3f737871, v21
	v_fmac_f32_e32 v24, 0xbf167918, v23
	v_add_f32_e32 v26, v26, v27
	v_fmac_f32_e32 v22, 0x3f167918, v23
	v_fmac_f32_e32 v24, 0x3e9e377a, v26
	;; [unrolled: 1-line block ×3, first 2 shown]
	v_add_f32_e32 v26, v30, v25
	v_fmac_f32_e32 v19, 0x3e9e377a, v20
	v_fmac_f32_e32 v9, 0x3e9e377a, v20
	v_add_f32_e32 v20, v10, v30
	v_fma_f32 v10, -0.5, v26, v10
	v_mov_b32_e32 v26, v10
	v_add_f32_e32 v20, v20, v32
	v_fmac_f32_e32 v26, 0x3f737871, v23
	v_fmac_f32_e32 v10, 0xbf737871, v23
	v_add_f32_e32 v23, v33, v35
	v_add_f32_e32 v13, v13, v28
	;; [unrolled: 1-line block ×3, first 2 shown]
	v_sub_f32_e32 v27, v32, v30
	v_sub_f32_e32 v28, v34, v25
	v_fma_f32 v23, -0.5, v23, v11
	v_add_f32_e32 v20, v20, v25
	v_fmac_f32_e32 v26, 0xbf167918, v21
	v_add_f32_e32 v27, v27, v28
	v_fmac_f32_e32 v10, 0x3f167918, v21
	v_sub_f32_e32 v28, v30, v25
	v_mov_b32_e32 v25, v23
	v_add_f32_e32 v13, v13, v29
	v_fmac_f32_e32 v26, 0x3e9e377a, v27
	v_fmac_f32_e32 v10, 0x3e9e377a, v27
	;; [unrolled: 1-line block ×3, first 2 shown]
	v_sub_f32_e32 v29, v32, v34
	v_sub_f32_e32 v27, v31, v33
	;; [unrolled: 1-line block ×3, first 2 shown]
	v_fmac_f32_e32 v23, 0xbf737871, v28
	v_fmac_f32_e32 v25, 0x3f167918, v29
	v_add_f32_e32 v27, v27, v30
	v_fmac_f32_e32 v23, 0xbf167918, v29
	v_fmac_f32_e32 v25, 0x3e9e377a, v27
	;; [unrolled: 1-line block ×3, first 2 shown]
	v_add_f32_e32 v27, v31, v38
	v_add_f32_e32 v21, v11, v31
	v_fmac_f32_e32 v11, -0.5, v27
	v_mov_b32_e32 v27, v11
	v_add_f32_e32 v21, v21, v33
	v_fmac_f32_e32 v27, 0xbf737871, v29
	v_sub_f32_e32 v30, v33, v31
	v_sub_f32_e32 v31, v35, v38
	v_fmac_f32_e32 v11, 0x3f737871, v29
	v_add_f32_e32 v21, v21, v35
	v_fmac_f32_e32 v27, 0x3f167918, v28
	v_add_f32_e32 v30, v30, v31
	v_fmac_f32_e32 v11, 0xbf167918, v28
	v_add_f32_e32 v21, v21, v38
	v_fmac_f32_e32 v27, 0x3e9e377a, v30
	v_fmac_f32_e32 v11, 0x3e9e377a, v30
	s_barrier
	ds_write2_b64 v121, v[12:13], v[16:17] offset1:33
	ds_write2_b64 v121, v[18:19], v[8:9] offset0:66 offset1:99
	ds_write_b64 v121, v[14:15] offset:1056
	ds_write2_b64 v122, v[20:21], v[24:25] offset1:33
	ds_write2_b64 v122, v[26:27], v[10:11] offset0:66 offset1:99
	ds_write_b64 v122, v[22:23] offset:1056
	s_and_saveexec_b64 s[0:1], vcc
	s_cbranch_execz .LBB0_17
; %bb.16:
	v_mul_f32_e32 v8, v7, v99
	v_mul_f32_e32 v10, v1, v97
	v_fma_f32 v9, v6, v100, -v8
	v_mul_f32_e32 v8, v5, v66
	v_fma_f32 v12, v0, v98, -v10
	;; [unrolled: 2-line block ×3, first 2 shown]
	v_fma_f32 v13, v2, v96, -v10
	v_mul_f32_e32 v14, v7, v100
	v_mul_f32_e32 v15, v1, v98
	v_add_f32_e32 v1, v11, v13
	v_mul_f32_e32 v16, v5, v67
	v_fmac_f32_e32 v14, v6, v99
	v_fmac_f32_e32 v15, v0, v97
	v_fma_f32 v1, -0.5, v1, v65
	v_fmac_f32_e32 v16, v4, v66
	v_mul_f32_e32 v4, v3, v96
	v_sub_f32_e32 v0, v14, v15
	v_mov_b32_e32 v6, v1
	v_fmac_f32_e32 v4, v2, v95
	v_sub_f32_e32 v3, v11, v9
	v_sub_f32_e32 v5, v13, v12
	v_sub_f32_e32 v8, v9, v11
	v_sub_f32_e32 v10, v12, v13
	v_fmac_f32_e32 v6, 0x3f737871, v0
	v_sub_f32_e32 v2, v16, v4
	v_fmac_f32_e32 v1, 0xbf737871, v0
	v_add_f32_e32 v5, v3, v5
	v_add_f32_e32 v3, v9, v12
	v_add_f32_e32 v8, v8, v10
	v_fmac_f32_e32 v6, 0xbf167918, v2
	v_fmac_f32_e32 v1, 0x3f167918, v2
	v_fma_f32 v3, -0.5, v3, v65
	v_fmac_f32_e32 v6, 0x3e9e377a, v8
	v_fmac_f32_e32 v1, 0x3e9e377a, v8
	v_mov_b32_e32 v8, v3
	v_fmac_f32_e32 v8, 0xbf737871, v2
	v_fmac_f32_e32 v3, 0x3f737871, v2
	;; [unrolled: 1-line block ×4, first 2 shown]
	v_add_f32_e32 v0, v65, v11
	v_add_f32_e32 v0, v0, v9
	;; [unrolled: 1-line block ×4, first 2 shown]
	v_sub_f32_e32 v0, v14, v16
	v_sub_f32_e32 v2, v15, v4
	v_add_f32_e32 v2, v0, v2
	v_add_f32_e32 v0, v16, v4
	v_fma_f32 v0, -0.5, v0, v64
	v_fmac_f32_e32 v8, 0x3e9e377a, v5
	v_fmac_f32_e32 v3, 0x3e9e377a, v5
	v_sub_f32_e32 v9, v9, v12
	v_mov_b32_e32 v5, v0
	v_sub_f32_e32 v11, v11, v13
	v_fmac_f32_e32 v5, 0xbf737871, v9
	v_fmac_f32_e32 v0, 0x3f737871, v9
	;; [unrolled: 1-line block ×6, first 2 shown]
	v_sub_f32_e32 v2, v16, v14
	v_sub_f32_e32 v7, v4, v15
	v_add_f32_e32 v12, v2, v7
	v_add_f32_e32 v2, v14, v15
	v_fma_f32 v2, -0.5, v2, v64
	v_mov_b32_e32 v7, v2
	v_fmac_f32_e32 v7, 0x3f737871, v11
	v_fmac_f32_e32 v2, 0xbf737871, v11
	;; [unrolled: 1-line block ×4, first 2 shown]
	v_add_f32_e32 v9, v64, v16
	v_add_f32_e32 v9, v9, v14
	;; [unrolled: 1-line block ×3, first 2 shown]
	v_fmac_f32_e32 v2, 0x3e9e377a, v12
	v_add_f32_e32 v9, v9, v4
	v_add_u32_e32 v4, 0x3000, v120
	v_fmac_f32_e32 v7, 0x3e9e377a, v12
	ds_write2_b64 v4, v[9:10], v[2:3] offset0:114 offset1:147
	ds_write2_b64 v4, v[0:1], v[5:6] offset0:180 offset1:213
	ds_write_b64 v120, v[7:8] offset:14256
.LBB0_17:
	s_or_b64 exec, exec, s[0:1]
	s_waitcnt lgkmcnt(0)
	s_barrier
	ds_read2_b64 v[4:7], v113 offset1:165
	v_add_u32_e32 v3, 0x800, v113
	ds_read2_b64 v[8:11], v3 offset0:74 offset1:239
	v_add_u32_e32 v2, 0x1400, v113
	ds_read2_b64 v[12:15], v2 offset0:20 offset1:185
	v_add_u32_e32 v1, 0x1e00, v113
	s_waitcnt lgkmcnt(2)
	v_mul_f32_e32 v28, v53, v7
	ds_read2_b64 v[16:19], v1 offset0:30 offset1:195
	v_fmac_f32_e32 v28, v52, v6
	v_mul_f32_e32 v6, v53, v6
	v_fma_f32 v29, v52, v7, -v6
	s_waitcnt lgkmcnt(2)
	v_mul_f32_e32 v30, v55, v9
	v_mul_f32_e32 v6, v55, v8
	v_add_u32_e32 v0, 0x2800, v113
	v_fmac_f32_e32 v30, v54, v8
	v_fma_f32 v8, v54, v9, -v6
	v_mul_f32_e32 v9, v49, v11
	v_mul_f32_e32 v6, v49, v10
	ds_read2_b64 v[20:23], v0 offset0:40 offset1:205
	ds_read_b64 v[26:27], v113 offset:13200
	v_fmac_f32_e32 v9, v48, v10
	v_fma_f32 v10, v48, v11, -v6
	s_waitcnt lgkmcnt(3)
	v_mul_f32_e32 v11, v51, v13
	v_mul_f32_e32 v6, v51, v12
	v_fmac_f32_e32 v11, v50, v12
	v_fma_f32 v12, v50, v13, -v6
	v_mul_f32_e32 v13, v45, v15
	v_mul_f32_e32 v6, v45, v14
	v_fmac_f32_e32 v13, v44, v14
	v_fma_f32 v14, v44, v15, -v6
	s_waitcnt lgkmcnt(2)
	v_mul_f32_e32 v15, v47, v17
	v_mul_f32_e32 v6, v47, v16
	v_fmac_f32_e32 v15, v46, v16
	v_fma_f32 v16, v46, v17, -v6
	v_mul_f32_e32 v17, v41, v19
	v_mul_f32_e32 v6, v41, v18
	;; [unrolled: 9-line block ×3, first 2 shown]
	v_fmac_f32_e32 v21, v56, v22
	v_fma_f32 v22, v56, v23, -v6
	s_waitcnt lgkmcnt(0)
	v_mul_f32_e32 v23, v59, v27
	v_mul_f32_e32 v6, v59, v26
	v_add_f32_e32 v7, v5, v29
	v_fmac_f32_e32 v23, v58, v26
	v_fma_f32 v26, v58, v27, -v6
	v_add_f32_e32 v6, v4, v28
	v_add_f32_e32 v7, v7, v8
	;; [unrolled: 1-line block ×19, first 2 shown]
	v_sub_f32_e32 v26, v29, v26
	v_mad_u64_u32 v[24:25], s[0:1], s10, v78, 0
	v_add_f32_e32 v6, v6, v23
	v_add_f32_e32 v27, v28, v23
	v_sub_f32_e32 v23, v28, v23
	v_mul_f32_e32 v28, 0xbf0a6770, v26
	v_mul_f32_e32 v34, 0xbf68dda4, v26
	;; [unrolled: 1-line block ×5, first 2 shown]
	s_mov_b32 s2, 0x3f575c64
	s_mov_b32 s1, 0x3ed4b147
	;; [unrolled: 1-line block ×5, first 2 shown]
	v_mov_b32_e32 v46, v26
	v_fma_f32 v29, v27, s2, -v28
	v_fmac_f32_e32 v28, 0x3f575c64, v27
	v_mul_f32_e32 v32, 0x3f575c64, v31
	v_fma_f32 v35, v27, s1, -v34
	v_fmac_f32_e32 v34, 0x3ed4b147, v27
	v_mul_f32_e32 v36, 0x3ed4b147, v31
	;; [unrolled: 3-line block ×4, first 2 shown]
	v_fmac_f32_e32 v46, 0xbf75a155, v27
	v_mul_f32_e32 v31, 0xbf75a155, v31
	v_fma_f32 v26, v27, s4, -v26
	v_add_f32_e32 v28, v4, v28
	v_mov_b32_e32 v33, v32
	v_add_f32_e32 v29, v4, v29
	v_add_f32_e32 v34, v4, v34
	v_mov_b32_e32 v37, v36
	v_add_f32_e32 v35, v4, v35
	;; [unrolled: 3-line block ×5, first 2 shown]
	v_add_f32_e32 v26, v8, v22
	v_sub_f32_e32 v8, v8, v22
	v_fmac_f32_e32 v33, 0x3f0a6770, v23
	v_fmac_f32_e32 v32, 0xbf0a6770, v23
	;; [unrolled: 1-line block ×10, first 2 shown]
	v_add_f32_e32 v23, v30, v21
	v_mul_f32_e32 v22, 0xbf68dda4, v8
	v_fma_f32 v27, v23, s1, -v22
	v_fmac_f32_e32 v22, 0x3ed4b147, v23
	v_sub_f32_e32 v21, v30, v21
	v_add_f32_e32 v22, v22, v28
	v_mul_f32_e32 v28, 0x3ed4b147, v26
	v_add_f32_e32 v32, v5, v32
	v_mov_b32_e32 v30, v28
	v_add_f32_e32 v27, v27, v29
	v_fmac_f32_e32 v28, 0xbf68dda4, v21
	v_mul_f32_e32 v29, 0xbf4178ce, v8
	v_add_f32_e32 v33, v5, v33
	v_add_f32_e32 v37, v5, v37
	;; [unrolled: 1-line block ×9, first 2 shown]
	v_fmac_f32_e32 v30, 0x3f68dda4, v21
	v_add_f32_e32 v28, v28, v32
	v_fma_f32 v31, v23, s3, -v29
	v_fmac_f32_e32 v29, 0xbf27a4f4, v23
	v_mul_f32_e32 v32, 0xbf27a4f4, v26
	v_add_f32_e32 v30, v30, v33
	v_add_f32_e32 v29, v29, v34
	v_mov_b32_e32 v33, v32
	v_fmac_f32_e32 v32, 0xbf4178ce, v21
	v_mul_f32_e32 v34, 0x3e903f40, v8
	v_fmac_f32_e32 v33, 0x3f4178ce, v21
	v_add_f32_e32 v31, v31, v35
	v_add_f32_e32 v32, v32, v36
	v_fma_f32 v35, v23, s4, -v34
	v_fmac_f32_e32 v34, 0xbf75a155, v23
	v_mul_f32_e32 v36, 0xbf75a155, v26
	v_add_f32_e32 v33, v33, v37
	v_add_f32_e32 v34, v34, v38
	v_mov_b32_e32 v37, v36
	v_fmac_f32_e32 v36, 0x3e903f40, v21
	v_mul_f32_e32 v38, 0x3f7d64f0, v8
	v_fmac_f32_e32 v37, 0xbe903f40, v21
	v_add_f32_e32 v35, v35, v39
	v_add_f32_e32 v36, v36, v40
	v_fma_f32 v39, v23, s0, -v38
	v_mul_f32_e32 v40, 0xbe11bafb, v26
	v_mul_f32_e32 v26, 0x3f575c64, v26
	v_add_f32_e32 v37, v37, v41
	v_fmac_f32_e32 v38, 0xbe11bafb, v23
	v_mov_b32_e32 v41, v40
	v_add_f32_e32 v39, v39, v43
	v_mul_f32_e32 v8, 0x3f0a6770, v8
	v_mov_b32_e32 v43, v26
	v_add_f32_e32 v38, v38, v42
	v_fmac_f32_e32 v41, 0xbf7d64f0, v21
	v_fmac_f32_e32 v40, 0x3f7d64f0, v21
	v_mov_b32_e32 v42, v8
	v_fmac_f32_e32 v43, 0xbf0a6770, v21
	v_fma_f32 v8, v23, s2, -v8
	v_fmac_f32_e32 v26, 0x3f0a6770, v21
	v_add_f32_e32 v21, v10, v20
	v_sub_f32_e32 v10, v10, v20
	v_add_f32_e32 v4, v8, v4
	v_add_f32_e32 v8, v9, v19
	v_sub_f32_e32 v9, v9, v19
	v_mul_f32_e32 v19, 0xbf7d64f0, v10
	v_fma_f32 v20, v8, s0, -v19
	v_fmac_f32_e32 v19, 0xbe11bafb, v8
	v_add_f32_e32 v19, v19, v22
	v_mul_f32_e32 v22, 0xbe11bafb, v21
	v_fmac_f32_e32 v42, 0x3f575c64, v23
	v_mov_b32_e32 v23, v22
	v_add_f32_e32 v5, v26, v5
	v_fmac_f32_e32 v23, 0x3f7d64f0, v9
	v_mul_f32_e32 v26, 0x3e903f40, v10
	v_add_f32_e32 v23, v23, v30
	v_add_f32_e32 v20, v20, v27
	v_fmac_f32_e32 v22, 0xbf7d64f0, v9
	v_fma_f32 v27, v8, s4, -v26
	v_mul_f32_e32 v30, 0x3f68dda4, v10
	v_add_f32_e32 v22, v22, v28
	v_fmac_f32_e32 v26, 0xbf75a155, v8
	v_mul_f32_e32 v28, 0xbf75a155, v21
	v_add_f32_e32 v27, v27, v31
	v_fma_f32 v31, v8, s1, -v30
	v_fmac_f32_e32 v30, 0x3ed4b147, v8
	v_add_f32_e32 v26, v26, v29
	v_mov_b32_e32 v29, v28
	v_fmac_f32_e32 v28, 0x3e903f40, v9
	v_add_f32_e32 v30, v30, v34
	v_mul_f32_e32 v34, 0xbf0a6770, v10
	v_fmac_f32_e32 v29, 0xbe903f40, v9
	v_add_f32_e32 v28, v28, v32
	v_mul_f32_e32 v32, 0x3ed4b147, v21
	v_add_f32_e32 v31, v31, v35
	v_fma_f32 v35, v8, s2, -v34
	v_fmac_f32_e32 v34, 0x3f575c64, v8
	v_mul_f32_e32 v10, 0xbf4178ce, v10
	v_add_f32_e32 v29, v29, v33
	v_mov_b32_e32 v33, v32
	v_fmac_f32_e32 v32, 0x3f68dda4, v9
	v_add_f32_e32 v34, v34, v38
	v_mov_b32_e32 v38, v10
	v_fmac_f32_e32 v33, 0xbf68dda4, v9
	v_add_f32_e32 v32, v32, v36
	v_mul_f32_e32 v36, 0x3f575c64, v21
	v_fmac_f32_e32 v38, 0xbf27a4f4, v8
	v_mul_f32_e32 v21, 0xbf27a4f4, v21
	v_fma_f32 v8, v8, s3, -v10
	v_add_f32_e32 v33, v33, v37
	v_mov_b32_e32 v37, v36
	v_add_f32_e32 v35, v35, v39
	v_mov_b32_e32 v39, v21
	v_add_f32_e32 v4, v8, v4
	v_add_f32_e32 v8, v11, v17
	v_sub_f32_e32 v10, v11, v17
	v_sub_f32_e32 v11, v12, v18
	v_fmac_f32_e32 v37, 0x3f0a6770, v9
	v_fmac_f32_e32 v36, 0xbf0a6770, v9
	;; [unrolled: 1-line block ×4, first 2 shown]
	v_add_f32_e32 v9, v12, v18
	v_mul_f32_e32 v12, 0xbf4178ce, v11
	v_fma_f32 v17, v8, s3, -v12
	v_fmac_f32_e32 v12, 0xbf27a4f4, v8
	v_mul_f32_e32 v18, 0xbf27a4f4, v9
	v_add_f32_e32 v12, v12, v19
	v_mov_b32_e32 v19, v18
	v_add_f32_e32 v17, v17, v20
	v_fmac_f32_e32 v18, 0xbf4178ce, v10
	v_mul_f32_e32 v20, 0x3f7d64f0, v11
	v_add_f32_e32 v5, v21, v5
	v_fmac_f32_e32 v19, 0x3f4178ce, v10
	v_add_f32_e32 v18, v18, v22
	v_fma_f32 v21, v8, s0, -v20
	v_fmac_f32_e32 v20, 0xbe11bafb, v8
	v_mul_f32_e32 v22, 0xbe11bafb, v9
	v_add_f32_e32 v19, v19, v23
	v_add_f32_e32 v20, v20, v26
	v_mov_b32_e32 v23, v22
	v_fmac_f32_e32 v22, 0x3f7d64f0, v10
	v_mul_f32_e32 v26, 0xbf0a6770, v11
	v_fmac_f32_e32 v23, 0xbf7d64f0, v10
	v_add_f32_e32 v21, v21, v27
	v_add_f32_e32 v22, v22, v28
	v_fma_f32 v27, v8, s2, -v26
	v_fmac_f32_e32 v26, 0x3f575c64, v8
	v_mul_f32_e32 v28, 0x3f575c64, v9
	v_add_f32_e32 v23, v23, v29
	v_add_f32_e32 v26, v26, v30
	v_mov_b32_e32 v29, v28
	v_fmac_f32_e32 v28, 0xbf0a6770, v10
	v_mul_f32_e32 v30, 0xbe903f40, v11
	v_add_f32_e32 v27, v27, v31
	v_add_f32_e32 v28, v28, v32
	v_fma_f32 v31, v8, s4, -v30
	v_fmac_f32_e32 v30, 0xbf75a155, v8
	v_mul_f32_e32 v32, 0xbf75a155, v9
	v_mul_f32_e32 v11, 0x3f68dda4, v11
	;; [unrolled: 1-line block ×3, first 2 shown]
	v_add_f32_e32 v41, v41, v45
	v_add_f32_e32 v40, v40, v44
	;; [unrolled: 1-line block ×4, first 2 shown]
	v_fmac_f32_e32 v29, 0x3f0a6770, v10
	v_add_f32_e32 v30, v30, v34
	v_add_f32_e32 v31, v31, v35
	v_mov_b32_e32 v34, v11
	v_mov_b32_e32 v35, v9
	v_add_f32_e32 v37, v37, v41
	v_add_f32_e32 v36, v36, v40
	;; [unrolled: 1-line block ×5, first 2 shown]
	v_mov_b32_e32 v33, v32
	v_fmac_f32_e32 v32, 0xbe903f40, v10
	v_fmac_f32_e32 v34, 0x3ed4b147, v8
	;; [unrolled: 1-line block ×3, first 2 shown]
	v_fma_f32 v8, v8, s1, -v11
	v_sub_f32_e32 v41, v14, v16
	v_fmac_f32_e32 v33, 0x3e903f40, v10
	v_add_f32_e32 v32, v32, v36
	v_add_f32_e32 v34, v34, v38
	;; [unrolled: 1-line block ×4, first 2 shown]
	v_fmac_f32_e32 v9, 0x3f68dda4, v10
	v_add_f32_e32 v38, v13, v15
	v_add_f32_e32 v39, v14, v16
	v_mul_f32_e32 v4, 0xbe903f40, v41
	v_add_f32_e32 v33, v33, v37
	v_add_f32_e32 v37, v9, v5
	v_sub_f32_e32 v40, v13, v15
	v_fma_f32 v8, v38, s4, -v4
	v_fmac_f32_e32 v4, 0xbf75a155, v38
	v_mul_f32_e32 v9, 0xbf75a155, v39
	v_mul_f32_e32 v10, 0x3f0a6770, v41
	;; [unrolled: 1-line block ×4, first 2 shown]
	v_add_f32_e32 v4, v4, v12
	v_mov_b32_e32 v5, v9
	v_fma_f32 v12, v38, s2, -v10
	v_mov_b32_e32 v11, v13
	v_fma_f32 v16, v38, s3, -v14
	v_fmac_f32_e32 v14, 0xbf27a4f4, v38
	v_fmac_f32_e32 v5, 0x3e903f40, v40
	v_add_f32_e32 v8, v8, v17
	v_fmac_f32_e32 v9, 0xbe903f40, v40
	v_fmac_f32_e32 v11, 0xbf0a6770, v40
	v_add_f32_e32 v12, v12, v21
	v_fmac_f32_e32 v13, 0x3f0a6770, v40
	v_add_f32_e32 v14, v14, v26
	v_mul_f32_e32 v17, 0xbf27a4f4, v39
	v_add_f32_e32 v16, v16, v27
	v_mul_f32_e32 v21, 0x3ed4b147, v39
	v_mul_f32_e32 v26, 0xbf7d64f0, v41
	;; [unrolled: 1-line block ×3, first 2 shown]
	v_add_f32_e32 v5, v5, v19
	v_add_f32_e32 v9, v9, v18
	v_fmac_f32_e32 v10, 0x3f575c64, v38
	v_add_f32_e32 v11, v11, v23
	v_add_f32_e32 v13, v13, v22
	v_mov_b32_e32 v15, v17
	v_mul_f32_e32 v18, 0x3f68dda4, v41
	v_mov_b32_e32 v19, v21
	v_mov_b32_e32 v22, v26
	;; [unrolled: 1-line block ×3, first 2 shown]
	v_add_f32_e32 v10, v10, v20
	v_fmac_f32_e32 v15, 0x3f4178ce, v40
	v_fmac_f32_e32 v17, 0xbf4178ce, v40
	v_fma_f32 v20, v38, s1, -v18
	v_fmac_f32_e32 v18, 0x3ed4b147, v38
	v_fmac_f32_e32 v19, 0xbf68dda4, v40
	;; [unrolled: 1-line block ×5, first 2 shown]
	v_fma_f32 v26, v38, s0, -v26
	v_fmac_f32_e32 v27, 0xbf7d64f0, v40
	v_add_f32_e32 v15, v15, v29
	v_add_f32_e32 v17, v17, v28
	;; [unrolled: 1-line block ×10, first 2 shown]
	ds_write2_b64 v113, v[6:7], v[4:5] offset1:165
	ds_write2_b64 v3, v[10:11], v[14:15] offset0:74 offset1:239
	ds_write2_b64 v2, v[18:19], v[22:23] offset0:20 offset1:185
	;; [unrolled: 1-line block ×4, first 2 shown]
	ds_write_b64 v113, v[8:9] offset:13200
	s_waitcnt lgkmcnt(0)
	s_barrier
	ds_read2_b64 v[4:7], v113 offset1:165
	s_mov_b32 s0, 0x953a4099
	s_mov_b32 s1, 0x3f420dd2
	v_mad_u64_u32 v[11:12], s[2:3], s8, v114, 0
	s_waitcnt lgkmcnt(0)
	v_mul_f32_e32 v9, v94, v5
	v_fmac_f32_e32 v9, v93, v4
	v_cvt_f64_f32_e32 v[9:10], v9
	v_mul_f32_e32 v4, v94, v4
	v_fma_f32 v4, v93, v5, -v4
	v_cvt_f64_f32_e32 v[4:5], v4
	v_mul_f64 v[9:10], v[9:10], s[0:1]
	v_mov_b32_e32 v8, v25
	v_mul_f64 v[4:5], v[4:5], s[0:1]
	v_mad_u64_u32 v[13:14], s[2:3], s11, v78, v[8:9]
	v_mov_b32_e32 v8, v12
	v_mad_u64_u32 v[14:15], s[2:3], s9, v114, v[8:9]
	v_mov_b32_e32 v25, v13
	v_mul_f32_e32 v13, v92, v7
	v_cvt_f32_f64_e32 v8, v[9:10]
	v_cvt_f32_f64_e32 v9, v[4:5]
	v_lshlrev_b64 v[4:5], 3, v[24:25]
	v_fmac_f32_e32 v13, v91, v6
	v_mul_f32_e32 v6, v92, v6
	v_mov_b32_e32 v12, v14
	v_cvt_f64_f32_e32 v[13:14], v13
	v_fma_f32 v6, v91, v7, -v6
	v_mov_b32_e32 v10, s7
	v_cvt_f64_f32_e32 v[6:7], v6
	v_add_co_u32_e32 v15, vcc, s6, v4
	v_addc_co_u32_e32 v16, vcc, v10, v5, vcc
	v_lshlrev_b64 v[4:5], 3, v[11:12]
	v_mul_f64 v[10:11], v[13:14], s[0:1]
	v_add_co_u32_e32 v14, vcc, v15, v4
	v_mul_f64 v[12:13], v[6:7], s[0:1]
	v_addc_co_u32_e32 v15, vcc, v16, v5, vcc
	ds_read2_b64 v[3:6], v3 offset0:74 offset1:239
	global_store_dwordx2 v[14:15], v[8:9], off
	v_cvt_f32_f64_e32 v7, v[10:11]
	s_mul_i32 s2, s9, 0x528
	s_mul_hi_u32 s3, s8, 0x528
	s_waitcnt lgkmcnt(0)
	v_mul_f32_e32 v9, v88, v4
	v_fmac_f32_e32 v9, v87, v3
	v_mul_f32_e32 v3, v88, v3
	v_fma_f32 v3, v87, v4, -v3
	v_cvt_f64_f32_e32 v[3:4], v3
	v_cvt_f64_f32_e32 v[9:10], v9
	v_cvt_f32_f64_e32 v8, v[12:13]
	s_add_i32 s2, s3, s2
	v_mul_f64 v[3:4], v[3:4], s[0:1]
	v_mul_f64 v[9:10], v[9:10], s[0:1]
	s_mul_i32 s3, s8, 0x528
	v_mov_b32_e32 v12, s2
	v_add_co_u32_e32 v11, vcc, s3, v14
	v_addc_co_u32_e32 v12, vcc, v15, v12, vcc
	global_store_dwordx2 v[11:12], v[7:8], off
	v_cvt_f32_f64_e32 v8, v[3:4]
	v_mul_f32_e32 v3, v84, v6
	v_fmac_f32_e32 v3, v83, v5
	v_cvt_f32_f64_e32 v7, v[9:10]
	v_cvt_f64_f32_e32 v[9:10], v3
	v_mul_f32_e32 v3, v84, v5
	v_fma_f32 v3, v83, v6, -v3
	v_cvt_f64_f32_e32 v[13:14], v3
	ds_read2_b64 v[2:5], v2 offset0:20 offset1:185
	v_mov_b32_e32 v15, s2
	v_add_co_u32_e32 v11, vcc, s3, v11
	v_addc_co_u32_e32 v12, vcc, v12, v15, vcc
	global_store_dwordx2 v[11:12], v[7:8], off
	v_mul_f64 v[6:7], v[9:10], s[0:1]
	s_waitcnt lgkmcnt(0)
	v_mul_f32_e32 v10, v90, v3
	v_mul_f64 v[8:9], v[13:14], s[0:1]
	v_fmac_f32_e32 v10, v89, v2
	v_mul_f32_e32 v2, v90, v2
	v_fma_f32 v2, v89, v3, -v2
	v_cvt_f64_f32_e32 v[2:3], v2
	v_cvt_f64_f32_e32 v[13:14], v10
	v_cvt_f32_f64_e32 v6, v[6:7]
	v_add_co_u32_e32 v10, vcc, s3, v11
	v_mul_f64 v[2:3], v[2:3], s[0:1]
	v_cvt_f32_f64_e32 v7, v[8:9]
	v_mul_f64 v[8:9], v[13:14], s[0:1]
	v_mov_b32_e32 v13, s2
	v_addc_co_u32_e32 v11, vcc, v12, v13, vcc
	global_store_dwordx2 v[10:11], v[6:7], off
	v_mov_b32_e32 v14, s2
	v_cvt_f32_f64_e32 v7, v[2:3]
	v_mul_f32_e32 v2, v86, v5
	v_fmac_f32_e32 v2, v85, v4
	v_cvt_f32_f64_e32 v6, v[8:9]
	v_cvt_f64_f32_e32 v[8:9], v2
	v_mul_f32_e32 v2, v86, v4
	v_fma_f32 v2, v85, v5, -v2
	v_cvt_f64_f32_e32 v[12:13], v2
	ds_read2_b64 v[1:4], v1 offset0:30 offset1:195
	v_add_co_u32_e32 v10, vcc, s3, v10
	v_addc_co_u32_e32 v11, vcc, v11, v14, vcc
	global_store_dwordx2 v[10:11], v[6:7], off
	v_mul_f64 v[5:6], v[8:9], s[0:1]
	s_waitcnt lgkmcnt(0)
	v_mul_f32_e32 v9, v82, v2
	v_mul_f64 v[7:8], v[12:13], s[0:1]
	v_fmac_f32_e32 v9, v81, v1
	v_mul_f32_e32 v1, v82, v1
	v_fma_f32 v1, v81, v2, -v1
	v_cvt_f64_f32_e32 v[1:2], v1
	v_cvt_f64_f32_e32 v[12:13], v9
	v_cvt_f32_f64_e32 v5, v[5:6]
	v_add_co_u32_e32 v9, vcc, s3, v10
	v_mul_f64 v[1:2], v[1:2], s[0:1]
	v_cvt_f32_f64_e32 v6, v[7:8]
	v_mul_f64 v[7:8], v[12:13], s[0:1]
	v_mov_b32_e32 v12, s2
	v_addc_co_u32_e32 v10, vcc, v11, v12, vcc
	global_store_dwordx2 v[9:10], v[5:6], off
	v_mov_b32_e32 v13, s2
	v_cvt_f32_f64_e32 v6, v[1:2]
	v_mul_f32_e32 v1, v77, v4
	v_fmac_f32_e32 v1, v76, v3
	v_cvt_f32_f64_e32 v5, v[7:8]
	v_cvt_f64_f32_e32 v[7:8], v1
	v_mul_f32_e32 v1, v77, v3
	v_fma_f32 v1, v76, v4, -v1
	v_cvt_f64_f32_e32 v[11:12], v1
	ds_read2_b64 v[0:3], v0 offset0:40 offset1:205
	v_add_co_u32_e32 v9, vcc, s3, v9
	v_addc_co_u32_e32 v10, vcc, v10, v13, vcc
	global_store_dwordx2 v[9:10], v[5:6], off
	v_mul_f64 v[4:5], v[7:8], s[0:1]
	s_waitcnt lgkmcnt(0)
	v_mul_f32_e32 v8, v80, v1
	v_fmac_f32_e32 v8, v79, v0
	v_mul_f32_e32 v0, v80, v0
	v_mul_f64 v[6:7], v[11:12], s[0:1]
	v_fma_f32 v0, v79, v1, -v0
	v_cvt_f64_f32_e32 v[0:1], v0
	v_cvt_f64_f32_e32 v[11:12], v8
	v_cvt_f32_f64_e32 v4, v[4:5]
	v_add_co_u32_e32 v8, vcc, s3, v9
	v_mul_f64 v[0:1], v[0:1], s[0:1]
	v_cvt_f32_f64_e32 v5, v[6:7]
	v_mul_f64 v[6:7], v[11:12], s[0:1]
	v_mov_b32_e32 v11, s2
	v_addc_co_u32_e32 v9, vcc, v10, v11, vcc
	global_store_dwordx2 v[8:9], v[4:5], off
	v_mov_b32_e32 v10, s2
	v_cvt_f32_f64_e32 v5, v[0:1]
	v_mul_f32_e32 v0, v75, v3
	v_fmac_f32_e32 v0, v74, v2
	v_mul_f32_e32 v2, v75, v2
	v_fma_f32 v2, v74, v3, -v2
	v_cvt_f32_f64_e32 v4, v[6:7]
	v_cvt_f64_f32_e32 v[0:1], v0
	v_cvt_f64_f32_e32 v[2:3], v2
	ds_read_b64 v[6:7], v113 offset:13200
	v_add_co_u32_e32 v8, vcc, s3, v8
	v_addc_co_u32_e32 v9, vcc, v9, v10, vcc
	v_mul_f64 v[0:1], v[0:1], s[0:1]
	v_mul_f64 v[2:3], v[2:3], s[0:1]
	global_store_dwordx2 v[8:9], v[4:5], off
	s_waitcnt lgkmcnt(0)
	v_mul_f32_e32 v4, v73, v7
	v_fmac_f32_e32 v4, v72, v6
	v_mul_f32_e32 v6, v73, v6
	v_fma_f32 v6, v72, v7, -v6
	v_cvt_f64_f32_e32 v[4:5], v4
	v_cvt_f64_f32_e32 v[6:7], v6
	v_cvt_f32_f64_e32 v0, v[0:1]
	v_cvt_f32_f64_e32 v1, v[2:3]
	v_mul_f64 v[2:3], v[4:5], s[0:1]
	v_mul_f64 v[4:5], v[6:7], s[0:1]
	v_mov_b32_e32 v7, s2
	v_add_co_u32_e32 v6, vcc, s3, v8
	v_addc_co_u32_e32 v7, vcc, v9, v7, vcc
	global_store_dwordx2 v[6:7], v[0:1], off
	v_cvt_f32_f64_e32 v0, v[2:3]
	v_cvt_f32_f64_e32 v1, v[4:5]
	v_mov_b32_e32 v3, s2
	v_add_co_u32_e32 v2, vcc, s3, v6
	v_addc_co_u32_e32 v3, vcc, v7, v3, vcc
	global_store_dwordx2 v[2:3], v[0:1], off
.LBB0_18:
	s_endpgm
	.section	.rodata,"a",@progbits
	.p2align	6, 0x0
	.amdhsa_kernel bluestein_single_back_len1815_dim1_sp_op_CI_CI
		.amdhsa_group_segment_fixed_size 14520
		.amdhsa_private_segment_fixed_size 0
		.amdhsa_kernarg_size 104
		.amdhsa_user_sgpr_count 6
		.amdhsa_user_sgpr_private_segment_buffer 1
		.amdhsa_user_sgpr_dispatch_ptr 0
		.amdhsa_user_sgpr_queue_ptr 0
		.amdhsa_user_sgpr_kernarg_segment_ptr 1
		.amdhsa_user_sgpr_dispatch_id 0
		.amdhsa_user_sgpr_flat_scratch_init 0
		.amdhsa_user_sgpr_private_segment_size 0
		.amdhsa_uses_dynamic_stack 0
		.amdhsa_system_sgpr_private_segment_wavefront_offset 0
		.amdhsa_system_sgpr_workgroup_id_x 1
		.amdhsa_system_sgpr_workgroup_id_y 0
		.amdhsa_system_sgpr_workgroup_id_z 0
		.amdhsa_system_sgpr_workgroup_info 0
		.amdhsa_system_vgpr_workitem_id 0
		.amdhsa_next_free_vgpr 150
		.amdhsa_next_free_sgpr 20
		.amdhsa_reserve_vcc 1
		.amdhsa_reserve_flat_scratch 0
		.amdhsa_float_round_mode_32 0
		.amdhsa_float_round_mode_16_64 0
		.amdhsa_float_denorm_mode_32 3
		.amdhsa_float_denorm_mode_16_64 3
		.amdhsa_dx10_clamp 1
		.amdhsa_ieee_mode 1
		.amdhsa_fp16_overflow 0
		.amdhsa_exception_fp_ieee_invalid_op 0
		.amdhsa_exception_fp_denorm_src 0
		.amdhsa_exception_fp_ieee_div_zero 0
		.amdhsa_exception_fp_ieee_overflow 0
		.amdhsa_exception_fp_ieee_underflow 0
		.amdhsa_exception_fp_ieee_inexact 0
		.amdhsa_exception_int_div_zero 0
	.end_amdhsa_kernel
	.text
.Lfunc_end0:
	.size	bluestein_single_back_len1815_dim1_sp_op_CI_CI, .Lfunc_end0-bluestein_single_back_len1815_dim1_sp_op_CI_CI
                                        ; -- End function
	.section	.AMDGPU.csdata,"",@progbits
; Kernel info:
; codeLenInByte = 16188
; NumSgprs: 24
; NumVgprs: 150
; ScratchSize: 0
; MemoryBound: 0
; FloatMode: 240
; IeeeMode: 1
; LDSByteSize: 14520 bytes/workgroup (compile time only)
; SGPRBlocks: 2
; VGPRBlocks: 37
; NumSGPRsForWavesPerEU: 24
; NumVGPRsForWavesPerEU: 150
; Occupancy: 1
; WaveLimiterHint : 1
; COMPUTE_PGM_RSRC2:SCRATCH_EN: 0
; COMPUTE_PGM_RSRC2:USER_SGPR: 6
; COMPUTE_PGM_RSRC2:TRAP_HANDLER: 0
; COMPUTE_PGM_RSRC2:TGID_X_EN: 1
; COMPUTE_PGM_RSRC2:TGID_Y_EN: 0
; COMPUTE_PGM_RSRC2:TGID_Z_EN: 0
; COMPUTE_PGM_RSRC2:TIDIG_COMP_CNT: 0
	.type	__hip_cuid_8848dda9dd69ee68,@object ; @__hip_cuid_8848dda9dd69ee68
	.section	.bss,"aw",@nobits
	.globl	__hip_cuid_8848dda9dd69ee68
__hip_cuid_8848dda9dd69ee68:
	.byte	0                               ; 0x0
	.size	__hip_cuid_8848dda9dd69ee68, 1

	.ident	"AMD clang version 19.0.0git (https://github.com/RadeonOpenCompute/llvm-project roc-6.4.0 25133 c7fe45cf4b819c5991fe208aaa96edf142730f1d)"
	.section	".note.GNU-stack","",@progbits
	.addrsig
	.addrsig_sym __hip_cuid_8848dda9dd69ee68
	.amdgpu_metadata
---
amdhsa.kernels:
  - .args:
      - .actual_access:  read_only
        .address_space:  global
        .offset:         0
        .size:           8
        .value_kind:     global_buffer
      - .actual_access:  read_only
        .address_space:  global
        .offset:         8
        .size:           8
        .value_kind:     global_buffer
      - .actual_access:  read_only
        .address_space:  global
        .offset:         16
        .size:           8
        .value_kind:     global_buffer
      - .actual_access:  read_only
        .address_space:  global
        .offset:         24
        .size:           8
        .value_kind:     global_buffer
      - .actual_access:  read_only
        .address_space:  global
        .offset:         32
        .size:           8
        .value_kind:     global_buffer
      - .offset:         40
        .size:           8
        .value_kind:     by_value
      - .address_space:  global
        .offset:         48
        .size:           8
        .value_kind:     global_buffer
      - .address_space:  global
        .offset:         56
        .size:           8
        .value_kind:     global_buffer
      - .address_space:  global
        .offset:         64
        .size:           8
        .value_kind:     global_buffer
      - .address_space:  global
        .offset:         72
        .size:           8
        .value_kind:     global_buffer
      - .offset:         80
        .size:           4
        .value_kind:     by_value
      - .address_space:  global
        .offset:         88
        .size:           8
        .value_kind:     global_buffer
      - .address_space:  global
        .offset:         96
        .size:           8
        .value_kind:     global_buffer
    .group_segment_fixed_size: 14520
    .kernarg_segment_align: 8
    .kernarg_segment_size: 104
    .language:       OpenCL C
    .language_version:
      - 2
      - 0
    .max_flat_workgroup_size: 165
    .name:           bluestein_single_back_len1815_dim1_sp_op_CI_CI
    .private_segment_fixed_size: 0
    .sgpr_count:     24
    .sgpr_spill_count: 0
    .symbol:         bluestein_single_back_len1815_dim1_sp_op_CI_CI.kd
    .uniform_work_group_size: 1
    .uses_dynamic_stack: false
    .vgpr_count:     150
    .vgpr_spill_count: 0
    .wavefront_size: 64
amdhsa.target:   amdgcn-amd-amdhsa--gfx906
amdhsa.version:
  - 1
  - 2
...

	.end_amdgpu_metadata
